;; amdgpu-corpus repo=ROCm/rocFFT kind=compiled arch=gfx906 opt=O3
	.text
	.amdgcn_target "amdgcn-amd-amdhsa--gfx906"
	.amdhsa_code_object_version 6
	.protected	bluestein_single_back_len1800_dim1_sp_op_CI_CI ; -- Begin function bluestein_single_back_len1800_dim1_sp_op_CI_CI
	.globl	bluestein_single_back_len1800_dim1_sp_op_CI_CI
	.p2align	8
	.type	bluestein_single_back_len1800_dim1_sp_op_CI_CI,@function
bluestein_single_back_len1800_dim1_sp_op_CI_CI: ; @bluestein_single_back_len1800_dim1_sp_op_CI_CI
; %bb.0:
	s_load_dwordx4 s[0:3], s[4:5], 0x28
	v_mul_u32_u24_e32 v1, 0x16d, v0
	v_add_u32_sdwa v68, s6, v1 dst_sel:DWORD dst_unused:UNUSED_PAD src0_sel:DWORD src1_sel:WORD_1
	v_mov_b32_e32 v69, 0
	s_waitcnt lgkmcnt(0)
	v_cmp_gt_u64_e32 vcc, s[0:1], v[68:69]
	s_and_saveexec_b64 s[0:1], vcc
	s_cbranch_execz .LBB0_18
; %bb.1:
	s_load_dwordx4 s[8:11], s[4:5], 0x18
	s_load_dwordx4 s[12:15], s[4:5], 0x0
	s_movk_i32 s0, 0xb4
	v_mul_lo_u16_sdwa v1, v1, s0 dst_sel:DWORD dst_unused:UNUSED_PAD src0_sel:WORD_1 src1_sel:DWORD
	v_sub_u16_e32 v100, v0, v1
	s_waitcnt lgkmcnt(0)
	s_load_dwordx4 s[16:19], s[8:9], 0x0
	v_lshlrev_b32_e32 v99, 3, v100
	s_movk_i32 s6, 0x1000
	global_load_dwordx2 v[83:84], v99, s[12:13]
	global_load_dwordx2 v[81:82], v99, s[12:13] offset:1440
	global_load_dwordx2 v[73:74], v99, s[12:13] offset:2880
                                        ; implicit-def: $vgpr36
                                        ; implicit-def: $vgpr38
	s_waitcnt lgkmcnt(0)
	v_mad_u64_u32 v[0:1], s[0:1], s18, v68, 0
	v_mad_u64_u32 v[2:3], s[0:1], s16, v100, 0
	;; [unrolled: 1-line block ×4, first 2 shown]
	v_mov_b32_e32 v1, v4
	v_lshlrev_b64 v[0:1], 3, v[0:1]
	v_mov_b32_e32 v6, s3
	v_mov_b32_e32 v3, v5
	v_add_co_u32_e32 v4, vcc, s2, v0
	v_addc_co_u32_e32 v5, vcc, v6, v1, vcc
	v_lshlrev_b64 v[0:1], 3, v[2:3]
	v_mov_b32_e32 v2, s13
	v_add_co_u32_e32 v0, vcc, v4, v0
	v_add_co_u32_e64 v101, s[2:3], s12, v99
	s_mul_i32 s0, s17, 0x5a0
	s_mul_hi_u32 s1, s16, 0x5a0
	v_addc_co_u32_e32 v1, vcc, v5, v1, vcc
	v_addc_co_u32_e64 v22, vcc, 0, v2, s[2:3]
	s_add_i32 s0, s1, s0
	s_mul_i32 s1, s16, 0x5a0
	v_mov_b32_e32 v3, s0
	v_add_co_u32_e32 v2, vcc, s1, v0
	v_addc_co_u32_e32 v3, vcc, v1, v3, vcc
	v_mov_b32_e32 v5, s0
	v_add_co_u32_e32 v4, vcc, s1, v2
	v_addc_co_u32_e32 v5, vcc, v3, v5, vcc
	v_mov_b32_e32 v7, s0
	v_add_co_u32_e32 v6, vcc, s1, v4
	v_addc_co_u32_e32 v7, vcc, v5, v7, vcc
	global_load_dwordx2 v[8:9], v[0:1], off
	global_load_dwordx2 v[10:11], v[2:3], off
	;; [unrolled: 1-line block ×4, first 2 shown]
	v_add_co_u32_e32 v0, vcc, s6, v101
	v_addc_co_u32_e32 v1, vcc, 0, v22, vcc
	v_mov_b32_e32 v3, s0
	v_add_co_u32_e32 v2, vcc, s1, v6
	v_addc_co_u32_e32 v3, vcc, v7, v3, vcc
	global_load_dwordx2 v[4:5], v[2:3], off
	v_mov_b32_e32 v6, s0
	v_add_co_u32_e32 v2, vcc, s1, v2
	v_addc_co_u32_e32 v3, vcc, v3, v6, vcc
	global_load_dwordx2 v[6:7], v[2:3], off
	global_load_dwordx2 v[79:80], v[0:1], off offset:224
	global_load_dwordx2 v[75:76], v[0:1], off offset:1664
	;; [unrolled: 1-line block ×3, first 2 shown]
	v_mov_b32_e32 v1, s0
	v_add_co_u32_e32 v0, vcc, s1, v2
	v_addc_co_u32_e32 v1, vcc, v3, v1, vcc
	s_movk_i32 s6, 0x2000
	v_add_co_u32_e32 v16, vcc, s6, v101
	v_addc_co_u32_e32 v17, vcc, 0, v22, vcc
	global_load_dwordx2 v[2:3], v[0:1], off
	v_mov_b32_e32 v18, s0
	v_add_co_u32_e32 v0, vcc, s1, v0
	v_addc_co_u32_e32 v1, vcc, v1, v18, vcc
	global_load_dwordx2 v[18:19], v[0:1], off
	v_mov_b32_e32 v20, s0
	v_add_co_u32_e32 v0, vcc, s1, v0
	v_addc_co_u32_e32 v1, vcc, v1, v20, vcc
	global_load_dwordx2 v[20:21], v[0:1], off
	global_load_dwordx2 v[77:78], v[16:17], off offset:448
	global_load_dwordx2 v[71:72], v[16:17], off offset:1888
	;; [unrolled: 1-line block ×3, first 2 shown]
	v_mov_b32_e32 v16, s0
	v_add_co_u32_e32 v0, vcc, s1, v0
	v_addc_co_u32_e32 v1, vcc, v1, v16, vcc
	s_movk_i32 s0, 0x3000
	v_add_co_u32_e32 v16, vcc, s0, v101
	v_addc_co_u32_e32 v17, vcc, 0, v22, vcc
	global_load_dwordx2 v[0:1], v[0:1], off
	s_load_dwordx4 s[8:11], s[10:11], 0x0
	global_load_dwordx2 v[64:65], v[16:17], off offset:672
	s_mov_b32 s0, 0x3f737871
	s_load_dwordx2 s[16:17], s[4:5], 0x38
	s_mov_b32 s1, 0x3f167918
	s_mov_b32 s4, 0xbf737871
	;; [unrolled: 1-line block ×3, first 2 shown]
	s_waitcnt vmcnt(16)
	v_mul_f32_e32 v16, v9, v84
	v_fmac_f32_e32 v16, v8, v83
	v_mul_f32_e32 v8, v8, v84
	v_fma_f32 v17, v9, v83, -v8
	s_waitcnt vmcnt(15)
	v_mul_f32_e32 v8, v11, v82
	v_mul_f32_e32 v9, v10, v82
	v_fmac_f32_e32 v8, v10, v81
	v_fma_f32 v9, v11, v81, -v9
	ds_write2_b64 v99, v[16:17], v[8:9] offset1:180
	s_waitcnt vmcnt(14)
	v_mul_f32_e32 v8, v13, v74
	v_mul_f32_e32 v9, v12, v74
	v_fmac_f32_e32 v8, v12, v73
	v_fma_f32 v9, v13, v73, -v9
	v_add_u32_e32 v12, 0xa00, v99
	v_add_u32_e32 v13, 0x2000, v99
	;; [unrolled: 1-line block ×3, first 2 shown]
	s_waitcnt vmcnt(10)
	v_mul_f32_e32 v10, v15, v80
	v_mul_f32_e32 v11, v14, v80
	v_fmac_f32_e32 v10, v14, v79
	v_fma_f32 v11, v15, v79, -v11
	ds_write2_b64 v12, v[8:9], v[10:11] offset0:40 offset1:220
	s_waitcnt vmcnt(9)
	v_mul_f32_e32 v8, v5, v76
	v_fmac_f32_e32 v8, v4, v75
	v_mul_f32_e32 v4, v4, v76
	v_fma_f32 v9, v5, v75, -v4
	s_waitcnt vmcnt(8)
	v_mul_f32_e32 v4, v7, v70
	v_mul_f32_e32 v5, v6, v70
	v_fmac_f32_e32 v4, v6, v69
	v_fma_f32 v5, v7, v69, -v5
	v_add_u32_e32 v10, 0x1600, v99
	ds_write2_b64 v10, v[8:9], v[4:5] offset0:16 offset1:196
	s_waitcnt vmcnt(4)
	v_mul_f32_e32 v4, v3, v78
	v_fmac_f32_e32 v4, v2, v77
	v_mul_f32_e32 v2, v2, v78
	v_fma_f32 v5, v3, v77, -v2
	s_waitcnt vmcnt(3)
	v_mul_f32_e32 v2, v19, v72
	v_mul_f32_e32 v3, v18, v72
	v_fmac_f32_e32 v2, v18, v71
	v_fma_f32 v3, v19, v71, -v3
	ds_write2_b64 v13, v[4:5], v[2:3] offset0:56 offset1:236
	s_waitcnt vmcnt(2)
	v_mul_f32_e32 v2, v21, v67
	v_mul_f32_e32 v3, v20, v67
	v_fmac_f32_e32 v2, v20, v66
	v_fma_f32 v3, v21, v66, -v3
	s_waitcnt vmcnt(0)
	v_mul_f32_e32 v4, v1, v65
	v_fmac_f32_e32 v4, v0, v64
	v_mul_f32_e32 v0, v0, v65
	v_fma_f32 v5, v1, v64, -v0
	ds_write2_b64 v16, v[2:3], v[4:5] offset0:32 offset1:212
	s_waitcnt lgkmcnt(0)
	s_barrier
	ds_read2_b64 v[0:3], v99 offset1:180
	ds_read2_b64 v[4:7], v12 offset0:40 offset1:220
	ds_read2_b64 v[8:11], v10 offset0:16 offset1:196
	;; [unrolled: 1-line block ×4, first 2 shown]
	s_waitcnt lgkmcnt(0)
	v_add_f32_e32 v20, v0, v4
	v_sub_f32_e32 v25, v4, v8
	v_add_f32_e32 v21, v8, v12
	v_fma_f32 v21, -0.5, v21, v0
	v_sub_f32_e32 v22, v5, v17
	v_mov_b32_e32 v23, v21
	v_fmac_f32_e32 v23, 0x3f737871, v22
	v_sub_f32_e32 v24, v9, v13
	v_sub_f32_e32 v26, v16, v12
	v_fmac_f32_e32 v21, 0xbf737871, v22
	v_fmac_f32_e32 v23, 0x3f167918, v24
	v_add_f32_e32 v25, v25, v26
	v_fmac_f32_e32 v21, 0xbf167918, v24
	v_fmac_f32_e32 v23, 0x3e9e377a, v25
	;; [unrolled: 1-line block ×3, first 2 shown]
	v_add_f32_e32 v25, v4, v16
	v_fma_f32 v25, -0.5, v25, v0
	v_mov_b32_e32 v26, v25
	v_fmac_f32_e32 v26, 0xbf737871, v24
	v_sub_f32_e32 v0, v8, v4
	v_sub_f32_e32 v27, v12, v16
	v_fmac_f32_e32 v25, 0x3f737871, v24
	v_fmac_f32_e32 v26, 0x3f167918, v22
	v_add_f32_e32 v0, v0, v27
	v_fmac_f32_e32 v25, 0xbf167918, v22
	v_fmac_f32_e32 v26, 0x3e9e377a, v0
	;; [unrolled: 1-line block ×3, first 2 shown]
	v_add_f32_e32 v0, v1, v5
	v_add_f32_e32 v0, v0, v9
	;; [unrolled: 1-line block ×5, first 2 shown]
	v_fma_f32 v27, -0.5, v0, v1
	v_add_f32_e32 v20, v20, v8
	v_sub_f32_e32 v0, v4, v16
	v_mov_b32_e32 v28, v27
	v_add_f32_e32 v20, v20, v12
	v_fmac_f32_e32 v28, 0xbf737871, v0
	v_sub_f32_e32 v4, v8, v12
	v_sub_f32_e32 v8, v5, v9
	;; [unrolled: 1-line block ×3, first 2 shown]
	v_fmac_f32_e32 v27, 0x3f737871, v0
	v_fmac_f32_e32 v28, 0xbf167918, v4
	v_add_f32_e32 v8, v8, v12
	v_fmac_f32_e32 v27, 0x3f167918, v4
	v_fmac_f32_e32 v28, 0x3e9e377a, v8
	;; [unrolled: 1-line block ×3, first 2 shown]
	v_add_f32_e32 v8, v5, v17
	v_fma_f32 v12, -0.5, v8, v1
	v_mov_b32_e32 v29, v12
	v_fmac_f32_e32 v29, 0x3f737871, v4
	v_fmac_f32_e32 v12, 0xbf737871, v4
	;; [unrolled: 1-line block ×4, first 2 shown]
	v_add_f32_e32 v0, v2, v6
	v_add_f32_e32 v0, v0, v10
	;; [unrolled: 1-line block ×3, first 2 shown]
	v_sub_f32_e32 v1, v9, v5
	v_sub_f32_e32 v5, v13, v17
	v_add_f32_e32 v13, v0, v18
	v_add_f32_e32 v0, v10, v14
	;; [unrolled: 1-line block ×3, first 2 shown]
	v_fma_f32 v9, -0.5, v0, v2
	v_fmac_f32_e32 v29, 0x3e9e377a, v1
	v_fmac_f32_e32 v12, 0x3e9e377a, v1
	v_sub_f32_e32 v0, v7, v19
	v_mov_b32_e32 v1, v9
	v_fmac_f32_e32 v1, 0x3f737871, v0
	v_sub_f32_e32 v4, v11, v15
	v_sub_f32_e32 v5, v6, v10
	;; [unrolled: 1-line block ×3, first 2 shown]
	v_fmac_f32_e32 v9, 0xbf737871, v0
	v_fmac_f32_e32 v1, 0x3f167918, v4
	v_add_f32_e32 v5, v5, v8
	v_fmac_f32_e32 v9, 0xbf167918, v4
	v_fmac_f32_e32 v1, 0x3e9e377a, v5
	;; [unrolled: 1-line block ×3, first 2 shown]
	v_add_f32_e32 v5, v6, v18
	v_add_f32_e32 v20, v20, v16
	v_fma_f32 v16, -0.5, v5, v2
	v_mov_b32_e32 v17, v16
	v_fmac_f32_e32 v17, 0xbf737871, v4
	v_fmac_f32_e32 v16, 0x3f737871, v4
	;; [unrolled: 1-line block ×4, first 2 shown]
	v_add_f32_e32 v0, v3, v7
	v_add_f32_e32 v0, v0, v11
	;; [unrolled: 1-line block ×5, first 2 shown]
	v_sub_f32_e32 v2, v10, v6
	v_sub_f32_e32 v5, v14, v18
	v_fma_f32 v22, -0.5, v0, v3
	v_add_f32_e32 v2, v2, v5
	v_sub_f32_e32 v0, v6, v18
	v_mov_b32_e32 v18, v22
	v_fmac_f32_e32 v17, 0x3e9e377a, v2
	v_fmac_f32_e32 v16, 0x3e9e377a, v2
	;; [unrolled: 1-line block ×3, first 2 shown]
	v_sub_f32_e32 v2, v10, v14
	v_sub_f32_e32 v4, v7, v11
	;; [unrolled: 1-line block ×3, first 2 shown]
	v_fmac_f32_e32 v22, 0x3f737871, v0
	v_fmac_f32_e32 v18, 0xbf167918, v2
	v_add_f32_e32 v4, v4, v5
	v_fmac_f32_e32 v22, 0x3f167918, v2
	v_fmac_f32_e32 v18, 0x3e9e377a, v4
	v_fmac_f32_e32 v22, 0x3e9e377a, v4
	v_add_f32_e32 v4, v7, v19
	v_fmac_f32_e32 v3, -0.5, v4
	v_mov_b32_e32 v10, v3
	v_sub_f32_e32 v4, v11, v7
	v_sub_f32_e32 v5, v15, v19
	v_fmac_f32_e32 v3, 0xbf737871, v2
	v_add_f32_e32 v4, v4, v5
	v_fmac_f32_e32 v3, 0x3f167918, v0
	v_fmac_f32_e32 v10, 0x3f737871, v2
	;; [unrolled: 1-line block ×3, first 2 shown]
	v_mul_f32_e32 v2, 0x3e9e377a, v16
	v_fmac_f32_e32 v10, 0xbf167918, v0
	v_fma_f32 v15, v3, s0, -v2
	v_mul_f32_e32 v5, 0x3f4f1bbd, v9
	v_mul_f32_e32 v3, 0x3e9e377a, v3
	v_fmac_f32_e32 v10, 0x3e9e377a, v4
	v_mul_f32_e32 v11, 0x3f4f1bbd, v1
	v_fma_f32 v19, v22, s1, -v5
	v_mul_f32_e32 v31, 0xbf167918, v1
	v_mul_f32_e32 v32, 0xbf737871, v17
	v_fma_f32 v33, v16, s4, -v3
	v_fmac_f32_e32 v11, 0x3f167918, v18
	v_mul_f32_e32 v14, 0x3f737871, v10
	v_add_f32_e32 v8, v21, v19
	v_fmac_f32_e32 v31, 0x3f4f1bbd, v18
	v_fmac_f32_e32 v32, 0x3e9e377a, v10
	v_add_f32_e32 v3, v12, v33
	v_mul_f32_e32 v10, 0x3f4f1bbd, v22
	v_sub_f32_e32 v22, v21, v19
	v_sub_f32_e32 v21, v12, v33
	v_mul_lo_u16_e32 v12, 10, v100
	v_add_f32_e32 v4, v20, v13
	v_add_f32_e32 v6, v23, v11
	v_fmac_f32_e32 v14, 0x3e9e377a, v17
	v_add_f32_e32 v5, v24, v30
	v_add_f32_e32 v7, v28, v31
	v_fma_f32 v34, v9, s5, -v10
	v_lshlrev_b32_e32 v102, 3, v12
	v_add_f32_e32 v0, v26, v14
	v_add_f32_e32 v2, v25, v15
	;; [unrolled: 1-line block ×4, first 2 shown]
	v_sub_f32_e32 v10, v20, v13
	v_sub_f32_e32 v16, v23, v11
	;; [unrolled: 1-line block ×8, first 2 shown]
	s_barrier
	ds_write_b128 v102, v[4:7]
	ds_write_b128 v102, v[0:3] offset:16
	ds_write_b128 v102, v[8:11] offset:32
	;; [unrolled: 1-line block ×4, first 2 shown]
	s_waitcnt lgkmcnt(0)
	s_barrier
	ds_read_b64 v[24:25], v99
	ds_read_b64 v[34:35], v99 offset:2400
	ds_read_b64 v[32:33], v99 offset:4800
	;; [unrolled: 1-line block ×5, first 2 shown]
	s_movk_i32 s0, 0x78
	v_cmp_gt_u16_e64 s[0:1], s0, v100
	s_and_saveexec_b64 s[4:5], s[0:1]
	s_cbranch_execz .LBB0_3
; %bb.2:
	ds_read_b64 v[16:17], v99 offset:1440
	ds_read_b64 v[18:19], v99 offset:3840
	;; [unrolled: 1-line block ×6, first 2 shown]
.LBB0_3:
	s_or_b64 exec, exec, s[4:5]
	v_add_co_u32_e32 v40, vcc, 0xb4, v100
	s_mov_b32 s4, 0xcccd
	v_mul_u32_u24_sdwa v0, v40, s4 dst_sel:DWORD dst_unused:UNUSED_PAD src0_sel:WORD_0 src1_sel:DWORD
	s_movk_i32 s4, 0xcd
	v_mul_lo_u16_sdwa v4, v100, s4 dst_sel:DWORD dst_unused:UNUSED_PAD src0_sel:BYTE_0 src1_sel:DWORD
	v_lshrrev_b32_e32 v50, 19, v0
	v_lshrrev_b16_e32 v52, 11, v4
	v_mul_lo_u16_e32 v0, 10, v50
	v_mul_lo_u16_e32 v4, 10, v52
	v_sub_u16_e32 v51, v40, v0
	v_sub_u16_e32 v4, v100, v4
	v_mul_lo_u16_e32 v0, 40, v51
	v_and_b32_e32 v53, 0xff, v4
	v_mov_b32_e32 v1, s15
	v_add_co_u32_e32 v41, vcc, s14, v0
	v_mad_u64_u32 v[43:44], s[4:5], v53, 40, s[14:15]
	v_addc_co_u32_e32 v42, vcc, 0, v1, vcc
	global_load_dwordx2 v[85:86], v[41:42], off offset:32
	global_load_dwordx4 v[0:3], v[41:42], off offset:16
	global_load_dwordx4 v[12:15], v[43:44], off
	global_load_dwordx4 v[8:11], v[43:44], off offset:16
	global_load_dwordx2 v[87:88], v[43:44], off offset:32
	global_load_dwordx4 v[4:7], v[41:42], off
	v_mad_legacy_u16 v103, v50, 60, v51
	s_waitcnt vmcnt(0) lgkmcnt(0)
	s_barrier
	v_mul_f32_e32 v46, v39, v86
	v_mul_f32_e32 v41, v22, v1
	;; [unrolled: 1-line block ×5, first 2 shown]
	v_fmac_f32_e32 v41, v23, v0
	v_fma_f32 v23, v36, v2, -v45
	v_mul_f32_e32 v45, v33, v15
	v_mul_f32_e32 v47, v31, v9
	;; [unrolled: 1-line block ×5, first 2 shown]
	v_fma_f32 v36, v38, v85, -v46
	v_fmac_f32_e32 v43, v39, v85
	v_mul_f32_e32 v39, v35, v13
	v_mul_f32_e32 v46, v32, v15
	;; [unrolled: 1-line block ×6, first 2 shown]
	v_fma_f32 v32, v32, v14, -v45
	v_fma_f32 v30, v30, v8, -v47
	;; [unrolled: 1-line block ×5, first 2 shown]
	v_mul_f32_e32 v44, v34, v13
	v_mul_f32_e32 v58, v21, v7
	v_fma_f32 v39, v34, v12, -v39
	v_fmac_f32_e32 v46, v33, v14
	v_fmac_f32_e32 v48, v31, v8
	;; [unrolled: 1-line block ×5, first 2 shown]
	v_add_f32_e32 v21, v32, v28
	v_add_f32_e32 v34, v30, v26
	v_fmac_f32_e32 v42, v37, v2
	v_mul_f32_e32 v37, v18, v5
	v_fmac_f32_e32 v44, v35, v12
	v_sub_f32_e32 v27, v46, v54
	v_add_f32_e32 v29, v25, v46
	v_add_f32_e32 v31, v46, v54
	;; [unrolled: 1-line block ×4, first 2 shown]
	v_fma_f32 v21, -0.5, v21, v24
	v_fmac_f32_e32 v39, -0.5, v34
	v_mul_f32_e32 v57, v19, v5
	v_fmac_f32_e32 v37, v19, v4
	v_fma_f32 v19, v20, v6, -v58
	v_add_f32_e32 v20, v24, v32
	v_sub_f32_e32 v35, v48, v56
	v_add_f32_e32 v45, v44, v48
	v_sub_f32_e32 v30, v30, v26
	v_add_f32_e32 v24, v29, v54
	v_add_f32_e32 v26, v33, v26
	v_fmac_f32_e32 v44, -0.5, v46
	v_mov_b32_e32 v29, v21
	v_mov_b32_e32 v33, v39
	v_fmac_f32_e32 v21, 0xbf5db3d7, v27
	v_fmac_f32_e32 v39, 0xbf5db3d7, v35
	;; [unrolled: 1-line block ×4, first 2 shown]
	v_mov_b32_e32 v27, v44
	v_add_f32_e32 v20, v20, v28
	v_fmac_f32_e32 v27, 0xbf5db3d7, v30
	v_fmac_f32_e32 v44, 0x3f5db3d7, v30
	v_mul_f32_e32 v48, -0.5, v39
	v_mul_f32_e32 v49, 0xbf5db3d7, v33
	v_sub_f32_e32 v32, v32, v28
	v_fmac_f32_e32 v25, -0.5, v31
	v_add_f32_e32 v28, v45, v56
	v_add_f32_e32 v30, v20, v26
	v_mul_f32_e32 v45, 0x3f5db3d7, v27
	v_fmac_f32_e32 v48, 0x3f5db3d7, v44
	v_fmac_f32_e32 v49, 0.5, v27
	v_mul_f32_e32 v27, -0.5, v44
	v_sub_f32_e32 v44, v20, v26
	v_add_f32_e32 v20, v19, v23
	v_mov_b32_e32 v47, v25
	v_fmac_f32_e32 v45, 0.5, v33
	v_fma_f32 v20, -0.5, v20, v16
	v_fmac_f32_e32 v25, 0x3f5db3d7, v32
	v_fmac_f32_e32 v47, 0xbf5db3d7, v32
	v_add_f32_e32 v32, v29, v45
	v_add_f32_e32 v34, v21, v48
	;; [unrolled: 1-line block ×3, first 2 shown]
	v_sub_f32_e32 v46, v29, v45
	v_sub_f32_e32 v48, v21, v48
	;; [unrolled: 1-line block ×4, first 2 shown]
	v_mov_b32_e32 v21, v20
	v_fmac_f32_e32 v21, 0x3f5db3d7, v24
	v_fmac_f32_e32 v20, 0xbf5db3d7, v24
	v_add_f32_e32 v24, v38, v42
	v_fmac_f32_e32 v27, 0xbf5db3d7, v39
	v_fma_f32 v24, -0.5, v24, v17
	v_add_f32_e32 v33, v47, v49
	v_add_f32_e32 v35, v25, v27
	v_sub_f32_e32 v47, v47, v49
	v_sub_f32_e32 v49, v25, v27
	;; [unrolled: 1-line block ×3, first 2 shown]
	v_mov_b32_e32 v25, v24
	v_fma_f32 v18, v18, v4, -v57
	v_fmac_f32_e32 v25, 0xbf5db3d7, v26
	v_fmac_f32_e32 v24, 0x3f5db3d7, v26
	v_add_f32_e32 v26, v22, v36
	v_fma_f32 v39, -0.5, v26, v18
	v_sub_f32_e32 v26, v41, v43
	v_mov_b32_e32 v28, v39
	v_fmac_f32_e32 v28, 0x3f5db3d7, v26
	v_fmac_f32_e32 v39, 0xbf5db3d7, v26
	v_add_f32_e32 v26, v41, v43
	v_fma_f32 v29, -0.5, v26, v37
	v_sub_f32_e32 v26, v22, v36
	v_mov_b32_e32 v54, v29
	v_fmac_f32_e32 v54, 0xbf5db3d7, v26
	v_fmac_f32_e32 v29, 0x3f5db3d7, v26
	v_mul_f32_e32 v26, 0x3f5db3d7, v54
	v_mul_f32_e32 v27, -0.5, v39
	v_fmac_f32_e32 v26, 0.5, v28
	v_fmac_f32_e32 v27, 0x3f5db3d7, v29
	v_mul_f32_e32 v28, 0xbf5db3d7, v28
	v_mul_f32_e32 v29, -0.5, v29
	v_fmac_f32_e32 v28, 0.5, v54
	v_fmac_f32_e32 v29, 0xbf5db3d7, v39
	v_mul_u32_u24_e32 v39, 60, v52
	v_sub_f32_e32 v91, v21, v26
	v_sub_f32_e32 v93, v20, v27
	;; [unrolled: 1-line block ×4, first 2 shown]
	v_add_lshl_u32 v104, v39, v53, 3
	ds_write2_b64 v104, v[30:31], v[32:33] offset1:10
	ds_write2_b64 v104, v[34:35], v[44:45] offset0:20 offset1:30
	ds_write2_b64 v104, v[46:47], v[48:49] offset0:40 offset1:50
	s_and_saveexec_b64 s[4:5], s[0:1]
	s_cbranch_execz .LBB0_5
; %bb.4:
	v_add_f32_e32 v17, v17, v38
	v_add_f32_e32 v16, v16, v19
	;; [unrolled: 1-line block ×8, first 2 shown]
	v_sub_f32_e32 v16, v23, v32
	v_add_f32_e32 v19, v24, v29
	v_add_f32_e32 v22, v25, v28
	;; [unrolled: 1-line block ×6, first 2 shown]
	v_lshlrev_b32_e32 v20, 3, v103
	v_sub_f32_e32 v17, v30, v31
	ds_write2_b64 v20, v[23:24], v[21:22] offset1:10
	ds_write2_b64 v20, v[18:19], v[16:17] offset0:20 offset1:30
	ds_write2_b64 v20, v[91:92], v[93:94] offset0:40 offset1:50
.LBB0_5:
	s_or_b64 exec, exec, s[4:5]
	s_movk_i32 s4, 0x89
	v_mul_lo_u16_sdwa v16, v100, s4 dst_sel:DWORD dst_unused:UNUSED_PAD src0_sel:BYTE_0 src1_sel:DWORD
	v_lshrrev_b16_e32 v53, 13, v16
	v_mul_lo_u16_e32 v16, 60, v53
	v_sub_u16_e32 v16, v100, v16
	v_and_b32_e32 v54, 0xff, v16
	v_mov_b32_e32 v17, s15
	s_movk_i32 s4, 0x48
	v_mov_b32_e32 v16, s14
	v_mad_u64_u32 v[32:33], s[4:5], v54, s4, v[16:17]
	s_waitcnt lgkmcnt(0)
	s_barrier
	global_load_dwordx4 v[28:31], v[32:33], off offset:400
	global_load_dwordx4 v[24:27], v[32:33], off offset:416
	;; [unrolled: 1-line block ×4, first 2 shown]
	global_load_dwordx2 v[89:90], v[32:33], off offset:464
	v_add_u32_e32 v36, 0xa00, v99
	v_add_u32_e32 v41, 0x1600, v99
	;; [unrolled: 1-line block ×4, first 2 shown]
	ds_read2_b64 v[32:35], v99 offset1:180
	ds_read2_b64 v[36:39], v36 offset0:40 offset1:220
	ds_read2_b64 v[41:44], v41 offset0:16 offset1:196
	ds_read2_b64 v[45:48], v45 offset0:56 offset1:236
	ds_read2_b64 v[49:52], v49 offset0:32 offset1:212
	s_mov_b32 s6, 0x3f737871
	s_mov_b32 s5, 0xbf167918
	s_mov_b32 s7, 0x3f167918
	s_mov_b32 s4, 0xbf737871
	s_waitcnt vmcnt(0) lgkmcnt(0)
	s_barrier
	v_mul_f32_e32 v55, v35, v29
	v_mul_f32_e32 v56, v34, v29
	;; [unrolled: 1-line block ×12, first 2 shown]
	v_fma_f32 v55, v34, v28, -v55
	v_fmac_f32_e32 v56, v35, v28
	v_fma_f32 v34, v36, v30, -v57
	v_fma_f32 v35, v38, v24, -v59
	;; [unrolled: 1-line block ×5, first 2 shown]
	v_mul_f32_e32 v95, v43, v21
	v_mul_f32_e32 v97, v45, v23
	;; [unrolled: 1-line block ×4, first 2 shown]
	v_fmac_f32_e32 v60, v39, v24
	v_fma_f32 v39, v47, v16, -v98
	v_fmac_f32_e32 v105, v48, v16
	v_sub_f32_e32 v47, v34, v36
	v_sub_f32_e32 v48, v41, v38
	v_add_f32_e32 v49, v34, v41
	v_mul_f32_e32 v63, v44, v21
	v_mul_f32_e32 v109, v51, v90
	v_fmac_f32_e32 v62, v42, v26
	v_fmac_f32_e32 v95, v44, v20
	;; [unrolled: 1-line block ×4, first 2 shown]
	v_fma_f32 v42, v51, v89, -v108
	v_add_f32_e32 v44, v36, v38
	v_sub_f32_e32 v50, v36, v34
	v_sub_f32_e32 v51, v38, v41
	v_add_f32_e32 v47, v47, v48
	v_fma_f32 v48, -0.5, v49, v32
	v_fmac_f32_e32 v58, v37, v30
	v_fma_f32 v37, v43, v20, -v63
	v_add_f32_e32 v43, v32, v34
	v_sub_f32_e32 v46, v62, v97
	v_fma_f32 v44, -0.5, v44, v32
	v_add_f32_e32 v32, v50, v51
	v_mov_b32_e32 v50, v48
	v_sub_f32_e32 v45, v58, v107
	v_fmac_f32_e32 v48, 0x3f737871, v46
	v_fmac_f32_e32 v50, 0xbf737871, v46
	;; [unrolled: 1-line block ×3, first 2 shown]
	v_add_f32_e32 v52, v33, v58
	v_fmac_f32_e32 v48, 0xbf167918, v45
	v_fmac_f32_e32 v50, 0x3f167918, v45
	v_mov_b32_e32 v49, v44
	v_fmac_f32_e32 v48, 0x3e9e377a, v32
	v_fmac_f32_e32 v50, 0x3e9e377a, v32
	v_add_f32_e32 v32, v52, v62
	v_fmac_f32_e32 v44, 0xbf737871, v45
	v_fmac_f32_e32 v49, 0x3f737871, v45
	v_add_f32_e32 v32, v32, v97
	;; [unrolled: 3-line block ×3, first 2 shown]
	v_add_f32_e32 v32, v62, v97
	v_fma_f32 v51, -0.5, v32, v33
	v_add_f32_e32 v43, v43, v36
	v_sub_f32_e32 v32, v34, v41
	v_mov_b32_e32 v52, v51
	v_add_f32_e32 v43, v43, v38
	v_fmac_f32_e32 v52, 0xbf737871, v32
	v_sub_f32_e32 v34, v36, v38
	v_sub_f32_e32 v36, v58, v62
	;; [unrolled: 1-line block ×3, first 2 shown]
	v_fmac_f32_e32 v51, 0x3f737871, v32
	v_fmac_f32_e32 v52, 0xbf167918, v34
	v_add_f32_e32 v36, v36, v38
	v_fmac_f32_e32 v51, 0x3f167918, v34
	v_fmac_f32_e32 v52, 0x3e9e377a, v36
	;; [unrolled: 1-line block ×3, first 2 shown]
	v_add_f32_e32 v36, v58, v107
	v_fma_f32 v57, -0.5, v36, v33
	v_mov_b32_e32 v59, v57
	v_fmac_f32_e32 v59, 0x3f737871, v34
	v_fmac_f32_e32 v57, 0xbf737871, v34
	v_fmac_f32_e32 v59, 0xbf167918, v32
	v_fmac_f32_e32 v57, 0x3f167918, v32
	v_add_f32_e32 v32, v55, v35
	v_add_f32_e32 v32, v32, v37
	;; [unrolled: 1-line block ×5, first 2 shown]
	v_fmac_f32_e32 v44, 0x3e9e377a, v47
	v_fmac_f32_e32 v49, 0x3e9e377a, v47
	v_sub_f32_e32 v33, v62, v58
	v_sub_f32_e32 v36, v97, v107
	v_fma_f32 v47, -0.5, v32, v55
	v_add_f32_e32 v33, v33, v36
	v_sub_f32_e32 v32, v60, v109
	v_mov_b32_e32 v58, v47
	v_fmac_f32_e32 v59, 0x3e9e377a, v33
	v_fmac_f32_e32 v57, 0x3e9e377a, v33
	;; [unrolled: 1-line block ×3, first 2 shown]
	v_sub_f32_e32 v33, v95, v105
	v_sub_f32_e32 v34, v35, v37
	;; [unrolled: 1-line block ×3, first 2 shown]
	v_fmac_f32_e32 v47, 0xbf737871, v32
	v_fmac_f32_e32 v58, 0x3f167918, v33
	v_add_f32_e32 v34, v34, v36
	v_fmac_f32_e32 v47, 0xbf167918, v33
	v_fmac_f32_e32 v58, 0x3e9e377a, v34
	;; [unrolled: 1-line block ×3, first 2 shown]
	v_add_f32_e32 v34, v35, v42
	v_fmac_f32_e32 v55, -0.5, v34
	v_mov_b32_e32 v61, v55
	v_fmac_f32_e32 v61, 0xbf737871, v33
	v_fmac_f32_e32 v55, 0x3f737871, v33
	v_fmac_f32_e32 v61, 0x3f167918, v32
	v_fmac_f32_e32 v55, 0xbf167918, v32
	v_add_f32_e32 v32, v56, v60
	v_add_f32_e32 v32, v32, v95
	;; [unrolled: 1-line block ×5, first 2 shown]
	v_sub_f32_e32 v34, v37, v35
	v_sub_f32_e32 v36, v39, v42
	v_fma_f32 v63, -0.5, v32, v56
	v_add_f32_e32 v34, v34, v36
	v_sub_f32_e32 v32, v35, v42
	v_mov_b32_e32 v35, v63
	v_fmac_f32_e32 v61, 0x3e9e377a, v34
	v_fmac_f32_e32 v55, 0x3e9e377a, v34
	;; [unrolled: 1-line block ×3, first 2 shown]
	v_sub_f32_e32 v33, v37, v39
	v_sub_f32_e32 v34, v60, v95
	;; [unrolled: 1-line block ×3, first 2 shown]
	v_fmac_f32_e32 v63, 0x3f737871, v32
	v_fmac_f32_e32 v35, 0xbf167918, v33
	v_add_f32_e32 v34, v34, v36
	v_fmac_f32_e32 v63, 0x3f167918, v33
	v_fmac_f32_e32 v35, 0x3e9e377a, v34
	;; [unrolled: 1-line block ×3, first 2 shown]
	v_add_f32_e32 v34, v60, v109
	v_fmac_f32_e32 v56, -0.5, v34
	v_mov_b32_e32 v37, v56
	v_fmac_f32_e32 v37, 0x3f737871, v33
	v_sub_f32_e32 v34, v95, v60
	v_sub_f32_e32 v36, v105, v109
	v_fmac_f32_e32 v56, 0xbf737871, v33
	v_fmac_f32_e32 v37, 0xbf167918, v32
	v_add_f32_e32 v34, v34, v36
	v_fmac_f32_e32 v56, 0x3f167918, v32
	v_fmac_f32_e32 v37, 0x3e9e377a, v34
	;; [unrolled: 1-line block ×3, first 2 shown]
	v_mul_f32_e32 v60, 0x3f167918, v35
	v_mul_f32_e32 v33, 0x3e9e377a, v55
	;; [unrolled: 1-line block ×3, first 2 shown]
	v_add_f32_e32 v43, v43, v41
	v_fmac_f32_e32 v60, 0x3f4f1bbd, v58
	v_mul_f32_e32 v95, 0x3f737871, v37
	v_fma_f32 v96, v56, s6, -v33
	v_mul_f32_e32 v58, 0xbf167918, v58
	v_mul_f32_e32 v39, 0x3e9e377a, v56
	v_fma_f32 v56, v47, s5, -v42
	v_add_f32_e32 v32, v43, v45
	v_add_f32_e32 v34, v49, v60
	v_fmac_f32_e32 v95, 0x3e9e377a, v61
	v_add_f32_e32 v38, v48, v96
	v_mul_f32_e32 v33, 0x3f4f1bbd, v47
	v_fmac_f32_e32 v58, 0x3f4f1bbd, v35
	v_mul_f32_e32 v61, 0xbf737871, v61
	v_add_f32_e32 v42, v51, v56
	v_sub_f32_e32 v43, v43, v45
	v_sub_f32_e32 v45, v49, v60
	;; [unrolled: 1-line block ×4, first 2 shown]
	v_mul_u32_u24_e32 v51, 0x258, v53
	v_fma_f32 v97, v63, s7, -v33
	v_add_f32_e32 v33, v46, v62
	v_add_f32_e32 v35, v52, v58
	v_fmac_f32_e32 v61, 0x3e9e377a, v37
	v_fma_f32 v55, v55, s4, -v39
	v_add_lshl_u32 v105, v51, v54, 3
	v_add_f32_e32 v36, v50, v95
	v_add_f32_e32 v41, v44, v97
	;; [unrolled: 1-line block ×4, first 2 shown]
	v_sub_f32_e32 v47, v50, v95
	v_sub_f32_e32 v95, v44, v97
	v_sub_f32_e32 v44, v46, v62
	ds_write2_b64 v105, v[32:33], v[34:35] offset1:60
	ds_write2_b64 v105, v[36:37], v[38:39] offset0:120 offset1:180
	v_add_u32_e32 v32, 0x400, v105
	v_sub_f32_e32 v46, v52, v58
	v_sub_f32_e32 v48, v59, v61
	ds_write2_b64 v32, v[41:42], v[43:44] offset0:112 offset1:172
	v_add_u32_e32 v32, 0x800, v105
	v_sub_f32_e32 v50, v57, v55
	ds_write2_b64 v32, v[45:46], v[47:48] offset0:104 offset1:164
	v_add_u32_e32 v32, 0xc00, v105
	ds_write2_b64 v32, v[49:50], v[95:96] offset0:96 offset1:156
	v_add_u32_e32 v32, 0xb00, v99
	s_waitcnt lgkmcnt(0)
	s_barrier
	ds_read2_b64 v[48:51], v32 offset0:8 offset1:248
	v_add_u32_e32 v32, 0x2400, v99
	v_add_u32_e32 v106, 0x1800, v99
	ds_read2_b64 v[52:55], v99 offset1:180
	ds_read2_b64 v[56:59], v32 offset0:48 offset1:228
	ds_read2_b64 v[60:63], v106 offset0:12 offset1:192
	ds_read_b64 v[97:98], v99 offset:12480
	v_cmp_gt_u16_e64 s[4:5], 60, v100
	s_and_saveexec_b64 s[6:7], s[4:5]
	s_cbranch_execz .LBB0_7
; %bb.6:
	ds_read_b64 v[95:96], v99 offset:4320
	ds_read_b64 v[91:92], v99 offset:9120
	;; [unrolled: 1-line block ×3, first 2 shown]
.LBB0_7:
	s_or_b64 exec, exec, s[6:7]
	v_lshlrev_b32_e32 v34, 4, v100
	v_add_co_u32_e32 v35, vcc, 0x21c, v100
	v_addc_co_u32_e64 v107, s[6:7], 0, 0, vcc
	v_mov_b32_e32 v108, s15
	v_add_co_u32_e32 v32, vcc, s14, v34
	v_addc_co_u32_e32 v33, vcc, 0, v108, vcc
	v_add_co_u32_e32 v32, vcc, 0x1000, v32
	v_addc_co_u32_e32 v33, vcc, 0, v33, vcc
	global_load_dwordx4 v[36:39], v[32:33], off offset:624
	v_add_u32_e32 v33, 0x1680, v34
	v_lshlrev_b32_e32 v32, 4, v40
	v_add_co_u32_e64 v33, s[6:7], s14, v33
	s_movk_i32 s12, 0x1000
	v_add_co_u32_e32 v32, vcc, s14, v32
	v_addc_co_u32_e64 v34, s[6:7], 0, v108, s[6:7]
	v_addc_co_u32_e32 v44, vcc, 0, v108, vcc
	v_add_co_u32_e64 v33, s[6:7], s12, v33
	v_add_co_u32_e32 v32, vcc, s12, v32
	v_addc_co_u32_e64 v34, s[6:7], 0, v34, s[6:7]
	global_load_dwordx4 v[40:43], v[33:34], off offset:624
	v_addc_co_u32_e32 v33, vcc, 0, v44, vcc
	s_movk_i32 s6, 0xffc4
	global_load_dwordx4 v[44:47], v[32:33], off offset:624
	v_add_co_u32_e32 v32, vcc, s6, v100
	v_addc_co_u32_e64 v33, s[6:7], 0, -1, vcc
	v_cndmask_b32_e64 v33, v33, v107, s[4:5]
	v_cndmask_b32_e64 v32, v32, v35, s[4:5]
	v_lshlrev_b64 v[32:33], 4, v[32:33]
	v_add_co_u32_e32 v32, vcc, s14, v32
	v_addc_co_u32_e32 v33, vcc, v108, v33, vcc
	v_add_co_u32_e32 v32, vcc, s12, v32
	v_addc_co_u32_e32 v33, vcc, 0, v33, vcc
	global_load_dwordx4 v[32:35], v[32:33], off offset:624
	s_waitcnt vmcnt(3) lgkmcnt(4)
	v_mul_f32_e32 v107, v51, v37
	s_waitcnt lgkmcnt(2)
	v_mul_f32_e32 v109, v57, v39
	v_mul_f32_e32 v108, v50, v37
	;; [unrolled: 1-line block ×3, first 2 shown]
	v_fma_f32 v107, v50, v36, -v107
	v_fma_f32 v56, v56, v38, -v109
	v_fmac_f32_e32 v108, v51, v36
	v_fmac_f32_e32 v110, v57, v38
	s_waitcnt vmcnt(2) lgkmcnt(1)
	v_mul_f32_e32 v111, v63, v41
	v_mul_f32_e32 v112, v62, v41
	v_fma_f32 v111, v62, v40, -v111
	s_waitcnt lgkmcnt(0)
	v_mul_f32_e32 v114, v97, v43
	s_waitcnt vmcnt(1)
	v_mul_f32_e32 v109, v58, v47
	v_mul_f32_e32 v51, v59, v47
	v_fmac_f32_e32 v109, v59, v46
	v_add_f32_e32 v59, v52, v107
	v_add_f32_e32 v62, v59, v56
	;; [unrolled: 1-line block ×3, first 2 shown]
	v_mul_f32_e32 v50, v61, v45
	v_fma_f32 v58, v58, v46, -v51
	v_fma_f32 v52, -0.5, v59, v52
	v_mul_f32_e32 v113, v98, v43
	v_fmac_f32_e32 v114, v98, v42
	v_fma_f32 v98, v60, v44, -v50
	v_sub_f32_e32 v59, v108, v110
	v_fmac_f32_e32 v112, v63, v40
	v_mul_f32_e32 v57, v60, v45
	v_sub_f32_e32 v56, v107, v56
	v_fmac_f32_e32 v57, v61, v44
	s_waitcnt vmcnt(0)
	v_mul_f32_e32 v51, v92, v33
	v_mul_f32_e32 v50, v91, v33
	v_fma_f32 v51, v91, v32, -v51
	v_mov_b32_e32 v91, v52
	v_fmac_f32_e32 v91, 0x3f5db3d7, v59
	v_fmac_f32_e32 v52, 0xbf5db3d7, v59
	v_add_f32_e32 v59, v53, v108
	v_add_f32_e32 v63, v59, v110
	;; [unrolled: 1-line block ×3, first 2 shown]
	v_fma_f32 v53, -0.5, v59, v53
	v_fmac_f32_e32 v50, v92, v32
	v_mov_b32_e32 v92, v53
	v_mul_f32_e32 v61, v94, v35
	v_fmac_f32_e32 v92, 0xbf5db3d7, v56
	v_fmac_f32_e32 v53, 0x3f5db3d7, v56
	v_add_f32_e32 v56, v54, v98
	v_mul_f32_e32 v60, v93, v35
	v_fma_f32 v61, v93, v34, -v61
	v_add_f32_e32 v93, v56, v58
	v_add_f32_e32 v56, v98, v58
	v_fma_f32 v54, -0.5, v56, v54
	v_fma_f32 v113, v97, v42, -v113
	v_sub_f32_e32 v56, v57, v109
	v_mov_b32_e32 v97, v54
	v_fmac_f32_e32 v97, 0x3f5db3d7, v56
	v_fmac_f32_e32 v54, 0xbf5db3d7, v56
	v_add_f32_e32 v56, v55, v57
	v_fmac_f32_e32 v60, v94, v34
	v_add_f32_e32 v94, v56, v109
	v_add_f32_e32 v56, v57, v109
	v_fmac_f32_e32 v55, -0.5, v56
	v_sub_f32_e32 v56, v98, v58
	v_mov_b32_e32 v98, v55
	v_fmac_f32_e32 v98, 0xbf5db3d7, v56
	v_fmac_f32_e32 v55, 0x3f5db3d7, v56
	v_add_f32_e32 v56, v48, v111
	v_add_f32_e32 v107, v56, v113
	;; [unrolled: 1-line block ×3, first 2 shown]
	v_fma_f32 v48, -0.5, v56, v48
	v_sub_f32_e32 v56, v112, v114
	v_mov_b32_e32 v109, v48
	v_fmac_f32_e32 v109, 0x3f5db3d7, v56
	v_fmac_f32_e32 v48, 0xbf5db3d7, v56
	v_add_f32_e32 v56, v49, v112
	v_add_f32_e32 v108, v56, v114
	;; [unrolled: 1-line block ×3, first 2 shown]
	v_fmac_f32_e32 v49, -0.5, v56
	v_sub_f32_e32 v56, v111, v113
	v_mov_b32_e32 v110, v49
	v_fmac_f32_e32 v110, 0xbf5db3d7, v56
	v_fmac_f32_e32 v49, 0x3f5db3d7, v56
	v_add_f32_e32 v56, v51, v61
	v_fma_f32 v56, -0.5, v56, v95
	v_sub_f32_e32 v57, v50, v60
	v_mov_b32_e32 v58, v56
	v_fmac_f32_e32 v58, 0x3f5db3d7, v57
	v_fmac_f32_e32 v56, 0xbf5db3d7, v57
	v_add_f32_e32 v57, v50, v60
	v_fma_f32 v57, -0.5, v57, v96
	v_sub_f32_e32 v111, v51, v61
	v_mov_b32_e32 v59, v57
	v_fmac_f32_e32 v59, 0xbf5db3d7, v111
	v_fmac_f32_e32 v57, 0x3f5db3d7, v111
	ds_write_b64 v99, v[91:92] offset:4800
	ds_write_b64 v99, v[52:53] offset:9600
	ds_write2_b64 v99, v[62:63], v[93:94] offset1:180
	ds_write_b64 v99, v[54:55] offset:11040
	ds_write_b64 v99, v[107:108] offset:2880
	ds_write2_b64 v106, v[97:98], v[109:110] offset0:12 offset1:192
	ds_write_b64 v99, v[48:49] offset:12480
	s_and_saveexec_b64 s[6:7], s[4:5]
	s_cbranch_execz .LBB0_9
; %bb.8:
	v_add_f32_e32 v48, v96, v50
	v_add_f32_e32 v49, v48, v60
	;; [unrolled: 1-line block ×4, first 2 shown]
	ds_write_b64 v99, v[48:49] offset:4320
	ds_write_b64 v99, v[58:59] offset:9120
	;; [unrolled: 1-line block ×3, first 2 shown]
.LBB0_9:
	s_or_b64 exec, exec, s[6:7]
	v_mov_b32_e32 v48, s13
	v_addc_co_u32_e64 v62, vcc, 0, v48, s[2:3]
	v_add_co_u32_e32 v52, vcc, 0x3840, v101
	v_addc_co_u32_e32 v53, vcc, 0, v62, vcc
	v_add_co_u32_e32 v54, vcc, 0x3000, v101
	v_addc_co_u32_e32 v55, vcc, 0, v62, vcc
	s_waitcnt lgkmcnt(0)
	s_barrier
	global_load_dwordx2 v[54:55], v[54:55], off offset:2112
	ds_read2_b64 v[48:51], v99 offset1:180
	v_add_u32_e32 v63, 0xa00, v99
	s_movk_i32 s2, 0x4000
	v_add_u32_e32 v91, 0x1600, v99
	v_add_u32_e32 v92, 0x2000, v99
	;; [unrolled: 1-line block ×3, first 2 shown]
	s_waitcnt vmcnt(0) lgkmcnt(0)
	v_mul_f32_e32 v60, v49, v55
	v_mul_f32_e32 v61, v48, v55
	v_fma_f32 v60, v48, v54, -v60
	v_fmac_f32_e32 v61, v49, v54
	global_load_dwordx2 v[48:49], v[52:53], off offset:1440
	s_waitcnt vmcnt(0)
	v_mul_f32_e32 v54, v51, v49
	global_load_dwordx2 v[52:53], v[52:53], off offset:2880
	v_mul_f32_e32 v55, v50, v49
	v_fma_f32 v54, v50, v48, -v54
	v_fmac_f32_e32 v55, v51, v48
	ds_write2_b64 v99, v[60:61], v[54:55] offset1:180
	ds_read2_b64 v[48:51], v63 offset0:40 offset1:220
	s_waitcnt vmcnt(0) lgkmcnt(0)
	v_mul_f32_e32 v54, v49, v53
	v_mul_f32_e32 v55, v48, v53
	v_fma_f32 v54, v48, v52, -v54
	v_fmac_f32_e32 v55, v49, v52
	v_add_co_u32_e32 v52, vcc, s2, v101
	v_addc_co_u32_e32 v53, vcc, 0, v62, vcc
	global_load_dwordx2 v[48:49], v[52:53], off offset:2336
	s_movk_i32 s2, 0x5000
	global_load_dwordx2 v[52:53], v[52:53], off offset:3776
	s_waitcnt vmcnt(1)
	v_mul_f32_e32 v60, v51, v49
	v_mul_f32_e32 v61, v50, v49
	v_fma_f32 v60, v50, v48, -v60
	v_fmac_f32_e32 v61, v51, v48
	ds_read2_b64 v[48:51], v91 offset0:16 offset1:196
	ds_write2_b64 v63, v[54:55], v[60:61] offset0:40 offset1:220
	s_waitcnt vmcnt(0) lgkmcnt(1)
	v_mul_f32_e32 v54, v49, v53
	v_mul_f32_e32 v55, v48, v53
	v_fma_f32 v54, v48, v52, -v54
	v_fmac_f32_e32 v55, v49, v52
	v_add_co_u32_e32 v52, vcc, s2, v101
	v_addc_co_u32_e32 v53, vcc, 0, v62, vcc
	global_load_dwordx2 v[48:49], v[52:53], off offset:1120
	s_movk_i32 s2, 0x6000
	s_waitcnt vmcnt(0)
	v_mul_f32_e32 v60, v51, v49
	v_mul_f32_e32 v61, v50, v49
	v_fma_f32 v60, v50, v48, -v60
	v_fmac_f32_e32 v61, v51, v48
	ds_write2_b64 v91, v[54:55], v[60:61] offset0:16 offset1:196
	global_load_dwordx2 v[54:55], v[52:53], off offset:2560
	ds_read2_b64 v[48:51], v92 offset0:56 offset1:236
	s_waitcnt vmcnt(0) lgkmcnt(0)
	v_mul_f32_e32 v60, v49, v55
	v_mul_f32_e32 v61, v48, v55
	v_fma_f32 v60, v48, v54, -v60
	v_fmac_f32_e32 v61, v49, v54
	global_load_dwordx2 v[48:49], v[52:53], off offset:4000
	s_waitcnt vmcnt(0)
	v_mul_f32_e32 v52, v51, v49
	v_mul_f32_e32 v53, v50, v49
	v_fma_f32 v52, v50, v48, -v52
	v_fmac_f32_e32 v53, v51, v48
	ds_write2_b64 v92, v[60:61], v[52:53] offset0:56 offset1:236
	v_add_co_u32_e32 v52, vcc, s2, v101
	v_addc_co_u32_e32 v53, vcc, 0, v62, vcc
	global_load_dwordx2 v[54:55], v[52:53], off offset:1344
	ds_read2_b64 v[48:51], v95 offset0:32 offset1:212
	s_waitcnt vmcnt(0) lgkmcnt(0)
	v_mul_f32_e32 v60, v49, v55
	v_mul_f32_e32 v61, v48, v55
	v_fma_f32 v60, v48, v54, -v60
	v_fmac_f32_e32 v61, v49, v54
	global_load_dwordx2 v[48:49], v[52:53], off offset:2784
	s_waitcnt vmcnt(0)
	v_mul_f32_e32 v52, v51, v49
	v_mul_f32_e32 v53, v50, v49
	v_fma_f32 v52, v50, v48, -v52
	v_fmac_f32_e32 v53, v51, v48
	ds_write2_b64 v95, v[60:61], v[52:53] offset0:32 offset1:212
	s_waitcnt lgkmcnt(0)
	s_barrier
	ds_read2_b64 v[48:51], v99 offset1:180
	ds_read2_b64 v[52:55], v63 offset0:40 offset1:220
	ds_read2_b64 v[60:63], v91 offset0:16 offset1:196
	;; [unrolled: 1-line block ×4, first 2 shown]
	s_waitcnt lgkmcnt(0)
	v_add_f32_e32 v101, v48, v52
	v_sub_f32_e32 v110, v52, v60
	v_add_f32_e32 v106, v60, v91
	v_fma_f32 v106, -0.5, v106, v48
	v_sub_f32_e32 v107, v53, v96
	v_mov_b32_e32 v108, v106
	v_fmac_f32_e32 v108, 0xbf737871, v107
	v_sub_f32_e32 v109, v61, v92
	v_sub_f32_e32 v111, v95, v91
	v_fmac_f32_e32 v106, 0x3f737871, v107
	v_fmac_f32_e32 v108, 0xbf167918, v109
	v_add_f32_e32 v110, v110, v111
	v_fmac_f32_e32 v106, 0x3f167918, v109
	v_fmac_f32_e32 v108, 0x3e9e377a, v110
	;; [unrolled: 1-line block ×3, first 2 shown]
	v_add_f32_e32 v110, v52, v95
	v_fma_f32 v110, -0.5, v110, v48
	v_mov_b32_e32 v111, v110
	v_fmac_f32_e32 v111, 0x3f737871, v109
	v_sub_f32_e32 v48, v60, v52
	v_sub_f32_e32 v112, v91, v95
	v_fmac_f32_e32 v110, 0xbf737871, v109
	v_fmac_f32_e32 v111, 0xbf167918, v107
	v_add_f32_e32 v48, v48, v112
	v_fmac_f32_e32 v110, 0x3f167918, v107
	v_fmac_f32_e32 v111, 0x3e9e377a, v48
	;; [unrolled: 1-line block ×3, first 2 shown]
	v_add_f32_e32 v48, v49, v53
	v_add_f32_e32 v48, v48, v61
	;; [unrolled: 1-line block ×5, first 2 shown]
	v_fma_f32 v109, -0.5, v48, v49
	v_add_f32_e32 v101, v101, v60
	v_sub_f32_e32 v48, v52, v95
	v_mov_b32_e32 v112, v109
	v_add_f32_e32 v101, v101, v91
	v_fmac_f32_e32 v112, 0x3f737871, v48
	v_sub_f32_e32 v52, v60, v91
	v_sub_f32_e32 v60, v53, v61
	;; [unrolled: 1-line block ×3, first 2 shown]
	v_fmac_f32_e32 v109, 0xbf737871, v48
	v_fmac_f32_e32 v112, 0x3f167918, v52
	v_add_f32_e32 v60, v60, v91
	v_fmac_f32_e32 v109, 0xbf167918, v52
	v_fmac_f32_e32 v112, 0x3e9e377a, v60
	v_fmac_f32_e32 v109, 0x3e9e377a, v60
	v_add_f32_e32 v60, v53, v96
	v_fma_f32 v113, -0.5, v60, v49
	v_mov_b32_e32 v114, v113
	v_fmac_f32_e32 v114, 0xbf737871, v52
	v_sub_f32_e32 v49, v61, v53
	v_sub_f32_e32 v53, v92, v96
	v_fmac_f32_e32 v113, 0x3f737871, v52
	v_fmac_f32_e32 v114, 0x3f167918, v48
	v_add_f32_e32 v49, v49, v53
	v_fmac_f32_e32 v113, 0xbf167918, v48
	v_fmac_f32_e32 v114, 0x3e9e377a, v49
	;; [unrolled: 1-line block ×3, first 2 shown]
	v_add_f32_e32 v49, v62, v93
	v_fma_f32 v49, -0.5, v49, v50
	v_sub_f32_e32 v52, v55, v98
	v_mov_b32_e32 v53, v49
	v_fmac_f32_e32 v53, 0xbf737871, v52
	v_sub_f32_e32 v60, v63, v94
	v_sub_f32_e32 v61, v54, v62
	;; [unrolled: 1-line block ×3, first 2 shown]
	v_fmac_f32_e32 v49, 0x3f737871, v52
	v_fmac_f32_e32 v53, 0xbf167918, v60
	v_add_f32_e32 v61, v61, v91
	v_fmac_f32_e32 v49, 0x3f167918, v60
	v_fmac_f32_e32 v53, 0x3e9e377a, v61
	;; [unrolled: 1-line block ×3, first 2 shown]
	v_add_f32_e32 v61, v54, v97
	v_add_f32_e32 v48, v50, v54
	v_fma_f32 v50, -0.5, v61, v50
	v_mov_b32_e32 v92, v50
	v_fmac_f32_e32 v92, 0x3f737871, v60
	v_fmac_f32_e32 v50, 0xbf737871, v60
	;; [unrolled: 1-line block ×4, first 2 shown]
	v_add_f32_e32 v52, v51, v55
	v_add_f32_e32 v52, v52, v63
	;; [unrolled: 1-line block ×5, first 2 shown]
	v_sub_f32_e32 v61, v62, v54
	v_sub_f32_e32 v91, v93, v97
	v_fma_f32 v52, -0.5, v52, v51
	v_add_f32_e32 v61, v61, v91
	v_sub_f32_e32 v54, v54, v97
	v_mov_b32_e32 v96, v52
	v_add_f32_e32 v48, v48, v62
	v_fmac_f32_e32 v92, 0x3e9e377a, v61
	v_fmac_f32_e32 v50, 0x3e9e377a, v61
	;; [unrolled: 1-line block ×3, first 2 shown]
	v_sub_f32_e32 v60, v62, v93
	v_sub_f32_e32 v61, v55, v63
	;; [unrolled: 1-line block ×3, first 2 shown]
	v_fmac_f32_e32 v52, 0xbf737871, v54
	v_fmac_f32_e32 v96, 0x3f167918, v60
	v_add_f32_e32 v61, v61, v62
	v_fmac_f32_e32 v52, 0xbf167918, v60
	v_fmac_f32_e32 v96, 0x3e9e377a, v61
	;; [unrolled: 1-line block ×3, first 2 shown]
	v_add_f32_e32 v61, v55, v98
	v_add_f32_e32 v48, v48, v93
	v_fmac_f32_e32 v51, -0.5, v61
	v_add_f32_e32 v48, v48, v97
	v_mov_b32_e32 v97, v51
	v_fmac_f32_e32 v97, 0xbf737871, v60
	v_sub_f32_e32 v55, v63, v55
	v_sub_f32_e32 v61, v94, v98
	v_fmac_f32_e32 v51, 0x3f737871, v60
	v_fmac_f32_e32 v97, 0x3f167918, v54
	v_add_f32_e32 v55, v55, v61
	v_fmac_f32_e32 v51, 0xbf167918, v54
	v_fmac_f32_e32 v97, 0x3e9e377a, v55
	v_fmac_f32_e32 v51, 0x3e9e377a, v55
	v_mul_f32_e32 v54, 0xbf167918, v96
	v_fmac_f32_e32 v54, 0x3f4f1bbd, v53
	v_mul_f32_e32 v55, 0xbf737871, v97
	v_mul_f32_e32 v98, 0xbf737871, v51
	;; [unrolled: 1-line block ×7, first 2 shown]
	v_add_f32_e32 v101, v101, v95
	v_fmac_f32_e32 v55, 0x3e9e377a, v92
	v_fmac_f32_e32 v98, 0xbe9e377a, v50
	;; [unrolled: 1-line block ×7, first 2 shown]
	v_add_f32_e32 v60, v101, v48
	v_add_f32_e32 v62, v108, v54
	;; [unrolled: 1-line block ×10, first 2 shown]
	v_sub_f32_e32 v97, v101, v48
	v_sub_f32_e32 v52, v110, v98
	;; [unrolled: 1-line block ×10, first 2 shown]
	s_barrier
	ds_write_b128 v102, v[60:63]
	ds_write_b128 v102, v[91:94] offset:16
	ds_write_b128 v102, v[95:98] offset:32
	;; [unrolled: 1-line block ×4, first 2 shown]
	s_waitcnt lgkmcnt(0)
	s_barrier
	ds_read_b64 v[60:61], v99
	ds_read_b64 v[97:98], v99 offset:2400
	ds_read_b64 v[95:96], v99 offset:4800
	;; [unrolled: 1-line block ×5, first 2 shown]
	s_and_saveexec_b64 s[2:3], s[0:1]
	s_cbranch_execz .LBB0_11
; %bb.10:
	ds_read_b64 v[48:49], v99 offset:1440
	ds_read_b64 v[50:51], v99 offset:3840
	;; [unrolled: 1-line block ×6, first 2 shown]
.LBB0_11:
	s_or_b64 exec, exec, s[2:3]
	s_waitcnt lgkmcnt(4)
	v_mul_f32_e32 v101, v13, v98
	v_mul_f32_e32 v13, v13, v97
	v_fmac_f32_e32 v101, v12, v97
	v_fma_f32 v12, v12, v98, -v13
	s_waitcnt lgkmcnt(3)
	v_mul_f32_e32 v13, v15, v96
	v_mul_f32_e32 v15, v15, v95
	v_fmac_f32_e32 v13, v14, v95
	v_fma_f32 v14, v14, v96, -v15
	;; [unrolled: 5-line block ×5, first 2 shown]
	v_mul_f32_e32 v8, v5, v51
	v_mul_f32_e32 v5, v5, v50
	v_fma_f32 v5, v4, v51, -v5
	v_add_f32_e32 v51, v13, v94
	v_fmac_f32_e32 v8, v4, v50
	v_mul_f32_e32 v4, v7, v53
	v_mul_f32_e32 v7, v7, v52
	v_fma_f32 v51, -0.5, v51, v60
	v_fmac_f32_e32 v4, v6, v52
	v_fma_f32 v7, v6, v53, -v7
	v_sub_f32_e32 v52, v14, v10
	v_mov_b32_e32 v53, v51
	v_fmac_f32_e32 v53, 0xbf5db3d7, v52
	v_fmac_f32_e32 v51, 0x3f5db3d7, v52
	v_add_f32_e32 v52, v61, v14
	v_add_f32_e32 v52, v52, v10
	v_add_f32_e32 v10, v14, v10
	v_fmac_f32_e32 v61, -0.5, v10
	v_add_f32_e32 v50, v60, v13
	v_sub_f32_e32 v10, v13, v94
	v_mov_b32_e32 v13, v61
	v_add_f32_e32 v14, v15, v11
	v_mul_f32_e32 v6, v1, v55
	v_mul_f32_e32 v1, v1, v54
	v_fmac_f32_e32 v13, 0x3f5db3d7, v10
	v_fmac_f32_e32 v61, 0xbf5db3d7, v10
	v_add_f32_e32 v10, v101, v15
	v_fmac_f32_e32 v101, -0.5, v14
	v_fmac_f32_e32 v6, v0, v54
	v_fma_f32 v1, v0, v55, -v1
	v_sub_f32_e32 v14, v93, v62
	v_mov_b32_e32 v54, v101
	v_add_f32_e32 v55, v93, v62
	v_fmac_f32_e32 v54, 0xbf5db3d7, v14
	v_fmac_f32_e32 v101, 0x3f5db3d7, v14
	v_add_f32_e32 v14, v12, v93
	v_fmac_f32_e32 v12, -0.5, v55
	v_mul_f32_e32 v0, v3, v59
	v_mul_f32_e32 v3, v3, v58
	v_add_f32_e32 v10, v10, v11
	v_sub_f32_e32 v11, v15, v11
	v_mov_b32_e32 v15, v12
	v_fmac_f32_e32 v0, v2, v58
	v_fma_f32 v3, v2, v59, -v3
	v_mul_f32_e32 v2, v86, v57
	v_mul_f32_e32 v9, v86, v56
	v_add_f32_e32 v50, v50, v94
	v_fmac_f32_e32 v15, 0x3f5db3d7, v11
	v_fmac_f32_e32 v12, 0xbf5db3d7, v11
	;; [unrolled: 1-line block ×3, first 2 shown]
	v_fma_f32 v9, v85, v57, -v9
	v_add_f32_e32 v56, v50, v10
	v_mul_f32_e32 v11, 0xbf5db3d7, v15
	v_mul_f32_e32 v55, 0xbf5db3d7, v12
	v_mul_f32_e32 v12, -0.5, v12
	v_sub_f32_e32 v85, v50, v10
	v_add_f32_e32 v10, v4, v0
	v_fmac_f32_e32 v11, 0.5, v54
	v_fmac_f32_e32 v12, 0x3f5db3d7, v101
	v_fma_f32 v10, -0.5, v10, v48
	v_add_f32_e32 v58, v53, v11
	v_add_f32_e32 v63, v61, v12
	v_sub_f32_e32 v87, v53, v11
	v_sub_f32_e32 v61, v61, v12
	;; [unrolled: 1-line block ×3, first 2 shown]
	v_mov_b32_e32 v11, v10
	v_mul_f32_e32 v15, 0.5, v15
	v_fmac_f32_e32 v11, 0xbf5db3d7, v12
	v_fmac_f32_e32 v10, 0x3f5db3d7, v12
	v_add_f32_e32 v12, v7, v3
	v_add_f32_e32 v14, v14, v62
	v_fmac_f32_e32 v15, 0x3f5db3d7, v54
	v_fma_f32 v12, -0.5, v12, v49
	v_add_f32_e32 v57, v52, v14
	v_add_f32_e32 v59, v13, v15
	v_sub_f32_e32 v86, v52, v14
	v_sub_f32_e32 v88, v13, v15
	;; [unrolled: 1-line block ×3, first 2 shown]
	v_mov_b32_e32 v13, v12
	v_fmac_f32_e32 v13, 0x3f5db3d7, v14
	v_fmac_f32_e32 v12, 0xbf5db3d7, v14
	v_add_f32_e32 v14, v6, v2
	v_fmac_f32_e32 v55, -0.5, v101
	v_fma_f32 v50, -0.5, v14, v8
	v_add_f32_e32 v62, v51, v55
	v_sub_f32_e32 v60, v51, v55
	v_sub_f32_e32 v14, v1, v9
	v_mov_b32_e32 v51, v50
	v_fmac_f32_e32 v51, 0xbf5db3d7, v14
	v_fmac_f32_e32 v50, 0x3f5db3d7, v14
	v_add_f32_e32 v14, v1, v9
	v_fma_f32 v52, -0.5, v14, v5
	v_sub_f32_e32 v14, v6, v2
	v_mov_b32_e32 v53, v52
	v_fmac_f32_e32 v53, 0x3f5db3d7, v14
	v_fmac_f32_e32 v52, 0xbf5db3d7, v14
	v_mul_f32_e32 v14, 0xbf5db3d7, v53
	v_mul_f32_e32 v15, 0xbf5db3d7, v52
	v_mul_f32_e32 v54, 0.5, v53
	v_mul_f32_e32 v55, -0.5, v52
	v_fmac_f32_e32 v14, 0.5, v51
	v_fmac_f32_e32 v15, -0.5, v50
	v_fmac_f32_e32 v54, 0x3f5db3d7, v51
	v_fmac_f32_e32 v55, 0x3f5db3d7, v50
	v_sub_f32_e32 v50, v11, v14
	v_sub_f32_e32 v52, v10, v15
	;; [unrolled: 1-line block ×4, first 2 shown]
	s_barrier
	ds_write2_b64 v104, v[56:57], v[58:59] offset1:10
	ds_write2_b64 v104, v[62:63], v[85:86] offset0:20 offset1:30
	ds_write2_b64 v104, v[87:88], v[60:61] offset0:40 offset1:50
	s_and_saveexec_b64 s[2:3], s[0:1]
	s_cbranch_execz .LBB0_13
; %bb.12:
	v_add_f32_e32 v7, v49, v7
	v_add_f32_e32 v7, v7, v3
	;; [unrolled: 1-line block ×8, first 2 shown]
	v_sub_f32_e32 v1, v7, v9
	v_sub_f32_e32 v0, v48, v6
	v_add_f32_e32 v5, v13, v54
	v_add_f32_e32 v7, v7, v9
	;; [unrolled: 1-line block ×4, first 2 shown]
	v_lshlrev_b32_e32 v8, 3, v103
	v_add_f32_e32 v3, v12, v55
	v_add_f32_e32 v2, v10, v15
	ds_write2_b64 v8, v[6:7], v[4:5] offset1:10
	ds_write2_b64 v8, v[2:3], v[0:1] offset0:20 offset1:30
	ds_write2_b64 v8, v[50:51], v[52:53] offset0:40 offset1:50
.LBB0_13:
	s_or_b64 exec, exec, s[2:3]
	s_waitcnt lgkmcnt(0)
	s_barrier
	ds_read2_b64 v[0:3], v99 offset1:180
	v_add_u32_e32 v4, 0xa00, v99
	ds_read2_b64 v[4:7], v4 offset0:40 offset1:220
	v_add_u32_e32 v8, 0x1600, v99
	ds_read2_b64 v[8:11], v8 offset0:16 offset1:196
	v_add_u32_e32 v48, 0x2c00, v99
	v_add_u32_e32 v12, 0x2000, v99
	ds_read2_b64 v[54:57], v48 offset0:32 offset1:212
	s_waitcnt lgkmcnt(3)
	v_mul_f32_e32 v48, v29, v3
	ds_read2_b64 v[12:15], v12 offset0:56 offset1:236
	v_fmac_f32_e32 v48, v28, v2
	v_mul_f32_e32 v2, v29, v2
	v_fma_f32 v28, v28, v3, -v2
	s_waitcnt lgkmcnt(3)
	v_mul_f32_e32 v2, v31, v5
	v_mul_f32_e32 v3, v31, v4
	v_fmac_f32_e32 v2, v30, v4
	v_fma_f32 v3, v30, v5, -v3
	v_mul_f32_e32 v4, v25, v7
	v_mul_f32_e32 v5, v25, v6
	v_fmac_f32_e32 v4, v24, v6
	v_fma_f32 v5, v24, v7, -v5
	s_waitcnt lgkmcnt(2)
	v_mul_f32_e32 v6, v27, v9
	v_mul_f32_e32 v7, v27, v8
	v_fmac_f32_e32 v6, v26, v8
	v_fma_f32 v7, v26, v9, -v7
	v_mul_f32_e32 v8, v21, v11
	v_mul_f32_e32 v9, v21, v10
	v_fmac_f32_e32 v8, v20, v10
	;; [unrolled: 9-line block ×3, first 2 shown]
	v_fma_f32 v13, v16, v15, -v13
	v_mul_f32_e32 v14, v19, v55
	v_mul_f32_e32 v15, v19, v54
	v_add_f32_e32 v19, v6, v10
	v_fma_f32 v15, v18, v55, -v15
	v_fma_f32 v19, -0.5, v19, v0
	v_fmac_f32_e32 v14, v18, v54
	v_sub_f32_e32 v20, v3, v15
	v_mov_b32_e32 v21, v19
	v_fmac_f32_e32 v21, 0xbf737871, v20
	v_sub_f32_e32 v22, v7, v11
	v_sub_f32_e32 v23, v2, v6
	;; [unrolled: 1-line block ×3, first 2 shown]
	v_fmac_f32_e32 v19, 0x3f737871, v20
	v_fmac_f32_e32 v21, 0xbf167918, v22
	v_add_f32_e32 v23, v23, v24
	v_fmac_f32_e32 v19, 0x3f167918, v22
	v_fmac_f32_e32 v21, 0x3e9e377a, v23
	;; [unrolled: 1-line block ×3, first 2 shown]
	v_add_f32_e32 v23, v2, v14
	v_fma_f32 v23, -0.5, v23, v0
	v_mov_b32_e32 v24, v23
	v_add_f32_e32 v18, v0, v2
	v_fmac_f32_e32 v24, 0x3f737871, v22
	v_sub_f32_e32 v0, v6, v2
	v_sub_f32_e32 v25, v10, v14
	v_fmac_f32_e32 v23, 0xbf737871, v22
	v_fmac_f32_e32 v24, 0xbf167918, v20
	v_add_f32_e32 v0, v0, v25
	v_fmac_f32_e32 v23, 0x3f167918, v20
	v_fmac_f32_e32 v24, 0x3e9e377a, v0
	;; [unrolled: 1-line block ×3, first 2 shown]
	v_add_f32_e32 v0, v1, v3
	v_add_f32_e32 v0, v0, v7
	v_add_f32_e32 v0, v0, v11
	v_add_f32_e32 v20, v0, v15
	v_add_f32_e32 v0, v7, v11
	v_fma_f32 v22, -0.5, v0, v1
	v_add_f32_e32 v18, v18, v6
	v_sub_f32_e32 v0, v2, v14
	v_mov_b32_e32 v25, v22
	v_add_f32_e32 v18, v18, v10
	v_fmac_f32_e32 v25, 0x3f737871, v0
	v_sub_f32_e32 v2, v6, v10
	v_sub_f32_e32 v6, v3, v7
	;; [unrolled: 1-line block ×3, first 2 shown]
	v_fmac_f32_e32 v22, 0xbf737871, v0
	v_fmac_f32_e32 v25, 0x3f167918, v2
	v_add_f32_e32 v6, v6, v10
	v_fmac_f32_e32 v22, 0xbf167918, v2
	v_fmac_f32_e32 v25, 0x3e9e377a, v6
	;; [unrolled: 1-line block ×3, first 2 shown]
	v_add_f32_e32 v6, v3, v15
	v_fma_f32 v26, -0.5, v6, v1
	v_mov_b32_e32 v27, v26
	v_fmac_f32_e32 v27, 0xbf737871, v2
	v_fmac_f32_e32 v26, 0x3f737871, v2
	;; [unrolled: 1-line block ×4, first 2 shown]
	v_add_f32_e32 v0, v48, v4
	v_mul_f32_e32 v16, v90, v57
	v_add_f32_e32 v0, v0, v8
	v_fmac_f32_e32 v16, v89, v56
	v_add_f32_e32 v0, v0, v12
	v_mul_f32_e32 v17, v90, v56
	v_add_f32_e32 v10, v0, v16
	v_add_f32_e32 v0, v8, v12
	v_fma_f32 v17, v89, v57, -v17
	v_sub_f32_e32 v1, v7, v3
	v_sub_f32_e32 v3, v11, v15
	v_fma_f32 v11, -0.5, v0, v48
	v_add_f32_e32 v1, v1, v3
	v_sub_f32_e32 v0, v5, v17
	v_mov_b32_e32 v3, v11
	v_fmac_f32_e32 v27, 0x3e9e377a, v1
	v_fmac_f32_e32 v26, 0x3e9e377a, v1
	;; [unrolled: 1-line block ×3, first 2 shown]
	v_sub_f32_e32 v1, v9, v13
	v_sub_f32_e32 v2, v4, v8
	;; [unrolled: 1-line block ×3, first 2 shown]
	v_fmac_f32_e32 v11, 0x3f737871, v0
	v_fmac_f32_e32 v3, 0xbf167918, v1
	v_add_f32_e32 v2, v2, v6
	v_fmac_f32_e32 v11, 0x3f167918, v1
	v_fmac_f32_e32 v3, 0x3e9e377a, v2
	;; [unrolled: 1-line block ×3, first 2 shown]
	v_add_f32_e32 v2, v4, v16
	v_fmac_f32_e32 v48, -0.5, v2
	v_mov_b32_e32 v7, v48
	v_fmac_f32_e32 v7, 0x3f737871, v1
	v_fmac_f32_e32 v48, 0xbf737871, v1
	;; [unrolled: 1-line block ×4, first 2 shown]
	v_add_f32_e32 v0, v28, v5
	v_add_f32_e32 v0, v0, v9
	;; [unrolled: 1-line block ×6, first 2 shown]
	v_sub_f32_e32 v2, v8, v4
	v_sub_f32_e32 v6, v12, v16
	v_fma_f32 v14, -0.5, v0, v28
	v_add_f32_e32 v2, v2, v6
	v_sub_f32_e32 v0, v4, v16
	v_mov_b32_e32 v16, v14
	v_fmac_f32_e32 v7, 0x3e9e377a, v2
	v_fmac_f32_e32 v48, 0x3e9e377a, v2
	;; [unrolled: 1-line block ×3, first 2 shown]
	v_sub_f32_e32 v1, v8, v12
	v_sub_f32_e32 v2, v5, v9
	;; [unrolled: 1-line block ×3, first 2 shown]
	v_fmac_f32_e32 v14, 0xbf737871, v0
	v_fmac_f32_e32 v16, 0x3f167918, v1
	v_add_f32_e32 v2, v2, v4
	v_fmac_f32_e32 v14, 0xbf167918, v1
	v_fmac_f32_e32 v16, 0x3e9e377a, v2
	;; [unrolled: 1-line block ×3, first 2 shown]
	v_add_f32_e32 v2, v5, v17
	v_fmac_f32_e32 v28, -0.5, v2
	v_mov_b32_e32 v12, v28
	v_sub_f32_e32 v2, v9, v5
	v_sub_f32_e32 v4, v13, v17
	v_fmac_f32_e32 v28, 0x3f737871, v1
	v_fmac_f32_e32 v12, 0xbf737871, v1
	v_add_f32_e32 v2, v2, v4
	v_fmac_f32_e32 v28, 0xbf167918, v0
	v_fmac_f32_e32 v12, 0x3f167918, v0
	;; [unrolled: 1-line block ×4, first 2 shown]
	v_mul_f32_e32 v13, 0xbf167918, v16
	v_mul_f32_e32 v29, 0xbf737871, v28
	;; [unrolled: 1-line block ×4, first 2 shown]
	v_fmac_f32_e32 v13, 0x3f4f1bbd, v3
	v_mul_f32_e32 v17, 0xbf737871, v12
	v_fmac_f32_e32 v29, 0xbe9e377a, v48
	v_mul_f32_e32 v30, 0xbf167918, v14
	v_fmac_f32_e32 v31, 0x3f167918, v3
	v_mul_f32_e32 v49, 0x3e9e377a, v12
	v_fmac_f32_e32 v28, 0x3f737871, v48
	v_mul_f32_e32 v48, 0xbf4f1bbd, v14
	v_add_f32_e32 v0, v18, v10
	v_add_f32_e32 v2, v21, v13
	v_fmac_f32_e32 v17, 0x3e9e377a, v7
	v_fmac_f32_e32 v30, 0xbf4f1bbd, v11
	v_add_f32_e32 v1, v20, v15
	v_add_f32_e32 v3, v25, v31
	v_fmac_f32_e32 v49, 0x3f737871, v7
	v_fmac_f32_e32 v48, 0x3f167918, v11
	v_add_f32_e32 v4, v24, v17
	v_add_f32_e32 v6, v23, v29
	;; [unrolled: 1-line block ×6, first 2 shown]
	v_sub_f32_e32 v10, v18, v10
	v_sub_f32_e32 v11, v20, v15
	s_barrier
	ds_write2_b64 v105, v[0:1], v[2:3] offset1:60
	ds_write2_b64 v105, v[4:5], v[6:7] offset0:120 offset1:180
	v_add_u32_e32 v0, 0x400, v105
	v_sub_f32_e32 v12, v21, v13
	v_sub_f32_e32 v14, v24, v17
	v_sub_f32_e32 v13, v25, v31
	v_sub_f32_e32 v15, v27, v49
	ds_write2_b64 v0, v[8:9], v[10:11] offset0:112 offset1:172
	v_add_u32_e32 v0, 0x800, v105
	v_sub_f32_e32 v18, v23, v29
	v_sub_f32_e32 v16, v19, v30
	;; [unrolled: 1-line block ×4, first 2 shown]
	ds_write2_b64 v0, v[12:13], v[14:15] offset0:104 offset1:164
	v_add_u32_e32 v0, 0xc00, v105
	ds_write2_b64 v0, v[18:19], v[16:17] offset0:96 offset1:156
	v_add_u32_e32 v0, 0xb00, v99
	v_add_u32_e32 v8, 0x2400, v99
	;; [unrolled: 1-line block ×3, first 2 shown]
	s_waitcnt lgkmcnt(0)
	s_barrier
	ds_read2_b64 v[4:7], v99 offset1:180
	ds_read2_b64 v[0:3], v0 offset0:8 offset1:248
	ds_read2_b64 v[12:15], v8 offset0:48 offset1:228
	;; [unrolled: 1-line block ×3, first 2 shown]
	ds_read_b64 v[18:19], v99 offset:12480
	s_and_saveexec_b64 s[0:1], s[4:5]
	s_cbranch_execz .LBB0_15
; %bb.14:
	ds_read_b64 v[16:17], v99 offset:4320
	ds_read_b64 v[50:51], v99 offset:9120
	;; [unrolled: 1-line block ×3, first 2 shown]
.LBB0_15:
	s_or_b64 exec, exec, s[0:1]
	s_waitcnt lgkmcnt(3)
	v_mul_f32_e32 v21, v37, v3
	v_fmac_f32_e32 v21, v36, v2
	v_mul_f32_e32 v2, v37, v2
	v_fma_f32 v22, v36, v3, -v2
	s_waitcnt lgkmcnt(2)
	v_mul_f32_e32 v23, v39, v13
	v_mul_f32_e32 v2, v39, v12
	v_fmac_f32_e32 v23, v38, v12
	v_fma_f32 v12, v38, v13, -v2
	s_waitcnt lgkmcnt(1)
	v_mul_f32_e32 v2, v45, v8
	v_fma_f32 v24, v44, v9, -v2
	v_mul_f32_e32 v25, v47, v15
	v_mul_f32_e32 v2, v47, v14
	v_fmac_f32_e32 v25, v46, v14
	v_fma_f32 v14, v46, v15, -v2
	v_mul_f32_e32 v2, v41, v10
	v_fma_f32 v27, v40, v11, -v2
	s_waitcnt lgkmcnt(0)
	v_mul_f32_e32 v2, v43, v18
	v_add_f32_e32 v3, v21, v23
	v_mul_f32_e32 v13, v45, v9
	v_mul_f32_e32 v28, v43, v19
	v_fma_f32 v19, v42, v19, -v2
	v_add_f32_e32 v2, v4, v21
	v_fma_f32 v4, -0.5, v3, v4
	v_fmac_f32_e32 v13, v44, v8
	v_sub_f32_e32 v3, v22, v12
	v_mov_b32_e32 v8, v4
	v_add_f32_e32 v9, v22, v12
	v_mul_f32_e32 v26, v41, v11
	v_fmac_f32_e32 v8, 0xbf5db3d7, v3
	v_fmac_f32_e32 v4, 0x3f5db3d7, v3
	v_add_f32_e32 v3, v5, v22
	v_fma_f32 v5, -0.5, v9, v5
	v_fmac_f32_e32 v26, v40, v10
	v_sub_f32_e32 v10, v21, v23
	v_mov_b32_e32 v9, v5
	v_add_f32_e32 v11, v13, v25
	v_fmac_f32_e32 v9, 0x3f5db3d7, v10
	v_fmac_f32_e32 v5, 0xbf5db3d7, v10
	v_add_f32_e32 v10, v6, v13
	v_fma_f32 v6, -0.5, v11, v6
	v_add_f32_e32 v3, v3, v12
	v_sub_f32_e32 v11, v24, v14
	v_mov_b32_e32 v12, v6
	v_fmac_f32_e32 v12, 0xbf5db3d7, v11
	v_fmac_f32_e32 v6, 0x3f5db3d7, v11
	v_add_f32_e32 v11, v7, v24
	v_add_f32_e32 v11, v11, v14
	;; [unrolled: 1-line block ×3, first 2 shown]
	v_fmac_f32_e32 v28, v42, v18
	v_fmac_f32_e32 v7, -0.5, v14
	v_sub_f32_e32 v14, v13, v25
	v_mov_b32_e32 v13, v7
	v_add_f32_e32 v15, v26, v28
	v_fmac_f32_e32 v13, 0x3f5db3d7, v14
	v_fmac_f32_e32 v7, 0xbf5db3d7, v14
	v_add_f32_e32 v14, v0, v26
	v_fma_f32 v0, -0.5, v15, v0
	v_sub_f32_e32 v15, v27, v19
	v_mov_b32_e32 v18, v0
	v_fmac_f32_e32 v18, 0xbf5db3d7, v15
	v_fmac_f32_e32 v0, 0x3f5db3d7, v15
	v_add_f32_e32 v15, v1, v27
	v_add_f32_e32 v15, v15, v19
	;; [unrolled: 1-line block ×3, first 2 shown]
	v_fmac_f32_e32 v1, -0.5, v19
	v_sub_f32_e32 v21, v26, v28
	v_mov_b32_e32 v19, v1
	v_add_f32_e32 v2, v2, v23
	v_add_f32_e32 v10, v10, v25
	;; [unrolled: 1-line block ×3, first 2 shown]
	v_fmac_f32_e32 v19, 0x3f5db3d7, v21
	v_fmac_f32_e32 v1, 0xbf5db3d7, v21
	ds_write_b64 v99, v[8:9] offset:4800
	ds_write_b64 v99, v[4:5] offset:9600
	ds_write2_b64 v99, v[2:3], v[10:11] offset1:180
	ds_write_b64 v99, v[6:7] offset:11040
	ds_write_b64 v99, v[14:15] offset:2880
	ds_write2_b64 v20, v[12:13], v[18:19] offset0:12 offset1:192
	ds_write_b64 v99, v[0:1] offset:12480
	s_and_saveexec_b64 s[0:1], s[4:5]
	s_cbranch_execz .LBB0_17
; %bb.16:
	v_mul_f32_e32 v0, v33, v50
	v_fma_f32 v2, v32, v51, -v0
	v_mul_f32_e32 v0, v35, v52
	v_fma_f32 v4, v34, v53, -v0
	v_add_f32_e32 v0, v2, v4
	v_mul_f32_e32 v6, v33, v51
	v_mul_f32_e32 v7, v35, v53
	v_fma_f32 v1, -0.5, v0, v17
	v_fmac_f32_e32 v6, v32, v50
	v_fmac_f32_e32 v7, v34, v52
	v_sub_f32_e32 v0, v6, v7
	v_mov_b32_e32 v3, v1
	v_fmac_f32_e32 v3, 0xbf5db3d7, v0
	v_fmac_f32_e32 v1, 0x3f5db3d7, v0
	v_add_f32_e32 v0, v17, v2
	v_add_f32_e32 v5, v0, v4
	;; [unrolled: 1-line block ×3, first 2 shown]
	v_fma_f32 v0, -0.5, v0, v16
	v_sub_f32_e32 v4, v2, v4
	v_mov_b32_e32 v2, v0
	v_fmac_f32_e32 v2, 0x3f5db3d7, v4
	v_fmac_f32_e32 v0, 0xbf5db3d7, v4
	v_add_f32_e32 v4, v16, v6
	v_add_f32_e32 v4, v4, v7
	ds_write_b64 v99, v[4:5] offset:4320
	ds_write_b64 v99, v[0:1] offset:9120
	;; [unrolled: 1-line block ×3, first 2 shown]
.LBB0_17:
	s_or_b64 exec, exec, s[0:1]
	s_waitcnt lgkmcnt(0)
	s_barrier
	ds_read2_b64 v[0:3], v99 offset1:180
	v_mad_u64_u32 v[4:5], s[0:1], s10, v68, 0
	s_mov_b32 s0, 0x789abcdf
	s_mov_b32 s1, 0x3f423456
	s_waitcnt lgkmcnt(0)
	v_mul_f32_e32 v6, v84, v1
	v_fmac_f32_e32 v6, v83, v0
	v_cvt_f64_f32_e32 v[6:7], v6
	v_mul_f32_e32 v0, v84, v0
	v_fma_f32 v0, v83, v1, -v0
	v_cvt_f64_f32_e32 v[0:1], v0
	v_mul_f64 v[6:7], v[6:7], s[0:1]
	v_mad_u64_u32 v[8:9], s[2:3], s8, v100, 0
	v_mul_f64 v[0:1], v[0:1], s[0:1]
	v_mad_u64_u32 v[10:11], s[2:3], s11, v68, v[5:6]
	v_mov_b32_e32 v5, v9
	v_mad_u64_u32 v[11:12], s[2:3], s9, v100, v[5:6]
	v_mov_b32_e32 v5, v10
	v_cvt_f32_f64_e32 v6, v[6:7]
	v_cvt_f32_f64_e32 v7, v[0:1]
	v_lshlrev_b64 v[0:1], 3, v[4:5]
	v_mul_f32_e32 v4, v82, v3
	v_fmac_f32_e32 v4, v81, v2
	v_mul_f32_e32 v2, v82, v2
	v_fma_f32 v2, v81, v3, -v2
	v_mov_b32_e32 v9, v11
	v_mov_b32_e32 v10, s17
	v_cvt_f64_f32_e32 v[2:3], v2
	v_add_co_u32_e32 v11, vcc, s16, v0
	v_addc_co_u32_e32 v12, vcc, v10, v1, vcc
	v_lshlrev_b64 v[0:1], 3, v[8:9]
	v_cvt_f64_f32_e32 v[4:5], v4
	v_add_co_u32_e32 v10, vcc, v11, v0
	v_add_u32_e32 v0, 0xa00, v99
	v_mul_f64 v[8:9], v[2:3], s[0:1]
	v_addc_co_u32_e32 v11, vcc, v12, v1, vcc
	ds_read2_b64 v[0:3], v0 offset0:40 offset1:220
	v_mul_f64 v[4:5], v[4:5], s[0:1]
	global_store_dwordx2 v[10:11], v[6:7], off
	s_mul_i32 s2, s9, 0x5a0
	s_mul_hi_u32 s3, s8, 0x5a0
	s_waitcnt lgkmcnt(0)
	v_mul_f32_e32 v6, v74, v1
	v_fmac_f32_e32 v6, v73, v0
	v_mul_f32_e32 v0, v74, v0
	v_fma_f32 v0, v73, v1, -v0
	v_cvt_f64_f32_e32 v[6:7], v6
	v_cvt_f64_f32_e32 v[0:1], v0
	v_cvt_f32_f64_e32 v4, v[4:5]
	v_cvt_f32_f64_e32 v5, v[8:9]
	s_add_i32 s2, s3, s2
	s_mul_i32 s3, s8, 0x5a0
	v_mov_b32_e32 v9, s2
	v_mul_f64 v[6:7], v[6:7], s[0:1]
	v_add_co_u32_e32 v8, vcc, s3, v10
	v_mul_f64 v[0:1], v[0:1], s[0:1]
	v_addc_co_u32_e32 v9, vcc, v11, v9, vcc
	global_store_dwordx2 v[8:9], v[4:5], off
	v_mul_f32_e32 v5, v80, v3
	v_fmac_f32_e32 v5, v79, v2
	v_mul_f32_e32 v2, v80, v2
	v_fma_f32 v2, v79, v3, -v2
	v_cvt_f64_f32_e32 v[2:3], v2
	v_cvt_f32_f64_e32 v4, v[6:7]
	v_cvt_f64_f32_e32 v[6:7], v5
	v_cvt_f32_f64_e32 v5, v[0:1]
	v_add_u32_e32 v0, 0x1600, v99
	v_mul_f64 v[10:11], v[2:3], s[0:1]
	ds_read2_b64 v[0:3], v0 offset0:16 offset1:196
	v_mov_b32_e32 v12, s2
	v_add_co_u32_e32 v8, vcc, s3, v8
	v_addc_co_u32_e32 v9, vcc, v9, v12, vcc
	global_store_dwordx2 v[8:9], v[4:5], off
	s_waitcnt lgkmcnt(0)
	v_mul_f32_e32 v4, v76, v1
	v_fmac_f32_e32 v4, v75, v0
	v_cvt_f64_f32_e32 v[4:5], v4
	v_mul_f32_e32 v0, v76, v0
	v_fma_f32 v0, v75, v1, -v0
	v_mul_f64 v[6:7], v[6:7], s[0:1]
	v_mul_f64 v[4:5], v[4:5], s[0:1]
	v_cvt_f64_f32_e32 v[0:1], v0
	v_add_co_u32_e32 v8, vcc, s3, v8
	v_mul_f64 v[0:1], v[0:1], s[0:1]
	v_cvt_f32_f64_e32 v6, v[6:7]
	v_cvt_f32_f64_e32 v4, v[4:5]
	v_mul_f32_e32 v5, v70, v3
	v_fmac_f32_e32 v5, v69, v2
	v_mul_f32_e32 v2, v70, v2
	v_cvt_f32_f64_e32 v7, v[10:11]
	v_fma_f32 v2, v69, v3, -v2
	v_cvt_f64_f32_e32 v[2:3], v2
	v_mov_b32_e32 v10, s2
	v_addc_co_u32_e32 v9, vcc, v9, v10, vcc
	global_store_dwordx2 v[8:9], v[6:7], off
	v_cvt_f64_f32_e32 v[6:7], v5
	v_cvt_f32_f64_e32 v5, v[0:1]
	v_add_u32_e32 v0, 0x2000, v99
	v_mul_f64 v[10:11], v[2:3], s[0:1]
	ds_read2_b64 v[0:3], v0 offset0:56 offset1:236
	v_add_co_u32_e32 v8, vcc, s3, v8
	v_addc_co_u32_e32 v9, vcc, v9, v12, vcc
	global_store_dwordx2 v[8:9], v[4:5], off
	s_waitcnt lgkmcnt(0)
	v_mul_f32_e32 v4, v78, v1
	v_fmac_f32_e32 v4, v77, v0
	v_cvt_f64_f32_e32 v[4:5], v4
	v_mul_f64 v[6:7], v[6:7], s[0:1]
	v_mul_f32_e32 v0, v78, v0
	v_fma_f32 v0, v77, v1, -v0
	v_mul_f64 v[4:5], v[4:5], s[0:1]
	v_cvt_f64_f32_e32 v[0:1], v0
	v_add_co_u32_e32 v8, vcc, s3, v8
	v_cvt_f32_f64_e32 v6, v[6:7]
	v_cvt_f32_f64_e32 v7, v[10:11]
	v_mul_f64 v[0:1], v[0:1], s[0:1]
	v_mov_b32_e32 v10, s2
	v_cvt_f32_f64_e32 v4, v[4:5]
	v_mul_f32_e32 v5, v72, v3
	v_addc_co_u32_e32 v9, vcc, v9, v10, vcc
	v_fmac_f32_e32 v5, v71, v2
	global_store_dwordx2 v[8:9], v[6:7], off
	v_cvt_f64_f32_e32 v[6:7], v5
	v_mul_f32_e32 v2, v72, v2
	v_fma_f32 v2, v71, v3, -v2
	v_cvt_f64_f32_e32 v[2:3], v2
	v_mul_f64 v[6:7], v[6:7], s[0:1]
	v_cvt_f32_f64_e32 v5, v[0:1]
	v_mov_b32_e32 v0, s2
	v_add_co_u32_e32 v8, vcc, s3, v8
	v_addc_co_u32_e32 v9, vcc, v9, v0, vcc
	v_add_u32_e32 v0, 0x2c00, v99
	v_mul_f64 v[10:11], v[2:3], s[0:1]
	ds_read2_b64 v[0:3], v0 offset0:32 offset1:212
	global_store_dwordx2 v[8:9], v[4:5], off
	v_cvt_f32_f64_e32 v4, v[6:7]
	v_add_co_u32_e32 v8, vcc, s3, v8
	s_waitcnt lgkmcnt(0)
	v_mul_f32_e32 v6, v67, v1
	v_fmac_f32_e32 v6, v66, v0
	v_mul_f32_e32 v0, v67, v0
	v_fma_f32 v0, v66, v1, -v0
	v_cvt_f32_f64_e32 v5, v[10:11]
	v_cvt_f64_f32_e32 v[6:7], v6
	v_cvt_f64_f32_e32 v[0:1], v0
	v_mov_b32_e32 v10, s2
	v_addc_co_u32_e32 v9, vcc, v9, v10, vcc
	global_store_dwordx2 v[8:9], v[4:5], off
	v_mul_f64 v[4:5], v[6:7], s[0:1]
	v_mul_f64 v[0:1], v[0:1], s[0:1]
	v_mul_f32_e32 v6, v65, v3
	v_fmac_f32_e32 v6, v64, v2
	v_mul_f32_e32 v2, v65, v2
	v_fma_f32 v2, v64, v3, -v2
	v_cvt_f64_f32_e32 v[6:7], v6
	v_cvt_f64_f32_e32 v[2:3], v2
	v_cvt_f32_f64_e32 v4, v[4:5]
	v_cvt_f32_f64_e32 v5, v[0:1]
	v_mul_f64 v[0:1], v[6:7], s[0:1]
	v_mul_f64 v[2:3], v[2:3], s[0:1]
	v_mov_b32_e32 v7, s2
	v_add_co_u32_e32 v6, vcc, s3, v8
	v_addc_co_u32_e32 v7, vcc, v9, v7, vcc
	global_store_dwordx2 v[6:7], v[4:5], off
	v_cvt_f32_f64_e32 v0, v[0:1]
	v_cvt_f32_f64_e32 v1, v[2:3]
	v_mov_b32_e32 v3, s2
	v_add_co_u32_e32 v2, vcc, s3, v6
	v_addc_co_u32_e32 v3, vcc, v7, v3, vcc
	global_store_dwordx2 v[2:3], v[0:1], off
.LBB0_18:
	s_endpgm
	.section	.rodata,"a",@progbits
	.p2align	6, 0x0
	.amdhsa_kernel bluestein_single_back_len1800_dim1_sp_op_CI_CI
		.amdhsa_group_segment_fixed_size 14400
		.amdhsa_private_segment_fixed_size 0
		.amdhsa_kernarg_size 104
		.amdhsa_user_sgpr_count 6
		.amdhsa_user_sgpr_private_segment_buffer 1
		.amdhsa_user_sgpr_dispatch_ptr 0
		.amdhsa_user_sgpr_queue_ptr 0
		.amdhsa_user_sgpr_kernarg_segment_ptr 1
		.amdhsa_user_sgpr_dispatch_id 0
		.amdhsa_user_sgpr_flat_scratch_init 0
		.amdhsa_user_sgpr_private_segment_size 0
		.amdhsa_uses_dynamic_stack 0
		.amdhsa_system_sgpr_private_segment_wavefront_offset 0
		.amdhsa_system_sgpr_workgroup_id_x 1
		.amdhsa_system_sgpr_workgroup_id_y 0
		.amdhsa_system_sgpr_workgroup_id_z 0
		.amdhsa_system_sgpr_workgroup_info 0
		.amdhsa_system_vgpr_workitem_id 0
		.amdhsa_next_free_vgpr 120
		.amdhsa_next_free_sgpr 20
		.amdhsa_reserve_vcc 1
		.amdhsa_reserve_flat_scratch 0
		.amdhsa_float_round_mode_32 0
		.amdhsa_float_round_mode_16_64 0
		.amdhsa_float_denorm_mode_32 3
		.amdhsa_float_denorm_mode_16_64 3
		.amdhsa_dx10_clamp 1
		.amdhsa_ieee_mode 1
		.amdhsa_fp16_overflow 0
		.amdhsa_exception_fp_ieee_invalid_op 0
		.amdhsa_exception_fp_denorm_src 0
		.amdhsa_exception_fp_ieee_div_zero 0
		.amdhsa_exception_fp_ieee_overflow 0
		.amdhsa_exception_fp_ieee_underflow 0
		.amdhsa_exception_fp_ieee_inexact 0
		.amdhsa_exception_int_div_zero 0
	.end_amdhsa_kernel
	.text
.Lfunc_end0:
	.size	bluestein_single_back_len1800_dim1_sp_op_CI_CI, .Lfunc_end0-bluestein_single_back_len1800_dim1_sp_op_CI_CI
                                        ; -- End function
	.section	.AMDGPU.csdata,"",@progbits
; Kernel info:
; codeLenInByte = 10648
; NumSgprs: 24
; NumVgprs: 120
; ScratchSize: 0
; MemoryBound: 0
; FloatMode: 240
; IeeeMode: 1
; LDSByteSize: 14400 bytes/workgroup (compile time only)
; SGPRBlocks: 2
; VGPRBlocks: 29
; NumSGPRsForWavesPerEU: 24
; NumVGPRsForWavesPerEU: 120
; Occupancy: 2
; WaveLimiterHint : 1
; COMPUTE_PGM_RSRC2:SCRATCH_EN: 0
; COMPUTE_PGM_RSRC2:USER_SGPR: 6
; COMPUTE_PGM_RSRC2:TRAP_HANDLER: 0
; COMPUTE_PGM_RSRC2:TGID_X_EN: 1
; COMPUTE_PGM_RSRC2:TGID_Y_EN: 0
; COMPUTE_PGM_RSRC2:TGID_Z_EN: 0
; COMPUTE_PGM_RSRC2:TIDIG_COMP_CNT: 0
	.type	__hip_cuid_ba72f72c4d03e5d2,@object ; @__hip_cuid_ba72f72c4d03e5d2
	.section	.bss,"aw",@nobits
	.globl	__hip_cuid_ba72f72c4d03e5d2
__hip_cuid_ba72f72c4d03e5d2:
	.byte	0                               ; 0x0
	.size	__hip_cuid_ba72f72c4d03e5d2, 1

	.ident	"AMD clang version 19.0.0git (https://github.com/RadeonOpenCompute/llvm-project roc-6.4.0 25133 c7fe45cf4b819c5991fe208aaa96edf142730f1d)"
	.section	".note.GNU-stack","",@progbits
	.addrsig
	.addrsig_sym __hip_cuid_ba72f72c4d03e5d2
	.amdgpu_metadata
---
amdhsa.kernels:
  - .args:
      - .actual_access:  read_only
        .address_space:  global
        .offset:         0
        .size:           8
        .value_kind:     global_buffer
      - .actual_access:  read_only
        .address_space:  global
        .offset:         8
        .size:           8
        .value_kind:     global_buffer
      - .actual_access:  read_only
        .address_space:  global
        .offset:         16
        .size:           8
        .value_kind:     global_buffer
      - .actual_access:  read_only
        .address_space:  global
        .offset:         24
        .size:           8
        .value_kind:     global_buffer
      - .actual_access:  read_only
        .address_space:  global
        .offset:         32
        .size:           8
        .value_kind:     global_buffer
      - .offset:         40
        .size:           8
        .value_kind:     by_value
      - .address_space:  global
        .offset:         48
        .size:           8
        .value_kind:     global_buffer
      - .address_space:  global
        .offset:         56
        .size:           8
        .value_kind:     global_buffer
      - .address_space:  global
        .offset:         64
        .size:           8
        .value_kind:     global_buffer
      - .address_space:  global
        .offset:         72
        .size:           8
        .value_kind:     global_buffer
      - .offset:         80
        .size:           4
        .value_kind:     by_value
      - .address_space:  global
        .offset:         88
        .size:           8
        .value_kind:     global_buffer
      - .address_space:  global
        .offset:         96
        .size:           8
        .value_kind:     global_buffer
    .group_segment_fixed_size: 14400
    .kernarg_segment_align: 8
    .kernarg_segment_size: 104
    .language:       OpenCL C
    .language_version:
      - 2
      - 0
    .max_flat_workgroup_size: 180
    .name:           bluestein_single_back_len1800_dim1_sp_op_CI_CI
    .private_segment_fixed_size: 0
    .sgpr_count:     24
    .sgpr_spill_count: 0
    .symbol:         bluestein_single_back_len1800_dim1_sp_op_CI_CI.kd
    .uniform_work_group_size: 1
    .uses_dynamic_stack: false
    .vgpr_count:     120
    .vgpr_spill_count: 0
    .wavefront_size: 64
amdhsa.target:   amdgcn-amd-amdhsa--gfx906
amdhsa.version:
  - 1
  - 2
...

	.end_amdgpu_metadata
